;; amdgpu-corpus repo=zjin-lcf/HeCBench kind=compiled arch=gfx950 opt=O3
	.amdgcn_target "amdgcn-amd-amdhsa--gfx950"
	.amdhsa_code_object_version 6
	.section	.text._Z12geglu_kernelIffLi160ELi1280ELi8ELi1EEvPT_PKS0_,"axG",@progbits,_Z12geglu_kernelIffLi160ELi1280ELi8ELi1EEvPT_PKS0_,comdat
	.protected	_Z12geglu_kernelIffLi160ELi1280ELi8ELi1EEvPT_PKS0_ ; -- Begin function _Z12geglu_kernelIffLi160ELi1280ELi8ELi1EEvPT_PKS0_
	.globl	_Z12geglu_kernelIffLi160ELi1280ELi8ELi1EEvPT_PKS0_
	.p2align	8
	.type	_Z12geglu_kernelIffLi160ELi1280ELi8ELi1EEvPT_PKS0_,@function
_Z12geglu_kernelIffLi160ELi1280ELi8ELi1EEvPT_PKS0_: ; @_Z12geglu_kernelIffLi160ELi1280ELi8ELi1EEvPT_PKS0_
; %bb.0:
	s_load_dwordx4 s[4:7], s[0:1], 0x0
	s_lshl_b32 s3, s2, 1
	s_mul_i32 s0, s2, 0x2800
	s_mul_hi_i32 s1, s3, 0x1400
	v_lshlrev_b32_e32 v1, 5, v0
	s_waitcnt lgkmcnt(0)
	s_add_u32 s0, s6, s0
	s_addc_u32 s1, s7, s1
	s_or_b32 s3, s3, 1
	s_mul_hi_i32 s8, s3, 0x1400
	s_mulk_i32 s3, 0x1400
	s_add_u32 s6, s6, s3
	s_addc_u32 s7, s7, s8
	global_load_dwordx4 v[14:17], v1, s[6:7] offset:16
	global_load_dwordx4 v[10:13], v1, s[6:7]
	global_load_dwordx4 v[2:5], v1, s[0:1] offset:16
	global_load_dwordx4 v[6:9], v1, s[0:1]
                                        ; implicit-def: $vgpr18
	s_waitcnt vmcnt(2)
	v_mul_f32_e32 v1, 0x3f3504f3, v10
	v_cmp_nlt_f32_e64 s[0:1], |v1|, 1.0
	s_and_saveexec_b64 s[6:7], s[0:1]
	s_xor_b64 s[0:1], exec, s[6:7]
	s_cbranch_execz .LBB0_2
; %bb.1:
	s_mov_b32 s3, 0x378e98ab
	v_mov_b32_e32 v18, 0xb9c68948
	v_fma_f32 v18, |v1|, s3, v18
	s_mov_b32 s3, 0x3b7cd369
	v_fma_f32 v18, |v1|, v18, s3
	s_mov_b32 s3, 0xbcc618b2
	v_fma_f32 v18, |v1|, v18, s3
	s_mov_b32 s3, 0x3dda74e4
	v_fma_f32 v18, |v1|, v18, s3
	s_mov_b32 s3, 0x3f228afd
	v_fma_f32 v18, |v1|, v18, s3
	s_mov_b32 s3, 0x3e03c728
	v_fma_f32 v18, |v1|, v18, s3
	v_fma_f32 v18, |v1|, v18, |v1|
	s_mov_b32 s3, 0xbfb8aa3b
	v_mul_f32_e32 v19, 0xbfb8aa3b, v18
	v_fma_f32 v20, v18, s3, -v19
	v_rndne_f32_e32 v21, v19
	v_fmamk_f32 v20, v18, 0xb2a5705f, v20
	v_sub_f32_e32 v19, v19, v21
	v_add_f32_e32 v19, v19, v20
	v_exp_f32_e32 v19, v19
	v_cvt_i32_f32_e32 v20, v21
	s_mov_b32 s3, 0x42ce8ed0
	v_cmp_nlt_f32_e32 vcc, s3, v18
	s_mov_b32 s3, 0xc2b17218
	v_ldexp_f32 v19, v19, v20
	v_cndmask_b32_e32 v19, 0, v19, vcc
	v_mov_b32_e32 v20, 0x7f800000
	v_cmp_ngt_f32_e32 vcc, s3, v18
	s_nop 1
	v_cndmask_b32_e32 v18, v20, v19, vcc
	v_sub_f32_e32 v18, 1.0, v18
.LBB0_2:
	s_andn2_saveexec_b64 s[0:1], s[0:1]
; %bb.3:
	v_mul_f32_e32 v18, v1, v1
	v_mov_b32_e32 v19, 0x3ba10414
	v_fmac_f32_e32 v19, 0xba1345e1, v18
	v_fmaak_f32 v19, v18, v19, 0xbcdac9b8
	v_fmaak_f32 v19, v18, v19, 0x3de703be
	;; [unrolled: 1-line block ×4, first 2 shown]
	v_fma_f32 v18, |v1|, v18, |v1|
; %bb.4:
	s_or_b64 exec, exec, s[0:1]
	v_mul_f32_e32 v19, 0x3f3504f3, v11
	v_cmp_nlt_f32_e64 s[0:1], |v19|, 1.0
                                        ; implicit-def: $vgpr20
	s_and_saveexec_b64 s[6:7], s[0:1]
	s_xor_b64 s[0:1], exec, s[6:7]
	s_cbranch_execz .LBB0_6
; %bb.5:
	s_mov_b32 s3, 0x378e98ab
	v_mov_b32_e32 v20, 0xb9c68948
	v_fma_f32 v20, |v19|, s3, v20
	s_mov_b32 s3, 0x3b7cd369
	v_fma_f32 v20, |v19|, v20, s3
	s_mov_b32 s3, 0xbcc618b2
	;; [unrolled: 2-line block ×5, first 2 shown]
	v_fma_f32 v20, |v19|, v20, s3
	v_fma_f32 v20, |v19|, v20, |v19|
	s_mov_b32 s3, 0xbfb8aa3b
	v_mul_f32_e32 v21, 0xbfb8aa3b, v20
	v_fma_f32 v22, v20, s3, -v21
	v_rndne_f32_e32 v23, v21
	v_fmamk_f32 v22, v20, 0xb2a5705f, v22
	v_sub_f32_e32 v21, v21, v23
	v_add_f32_e32 v21, v21, v22
	v_exp_f32_e32 v21, v21
	v_cvt_i32_f32_e32 v22, v23
	s_mov_b32 s3, 0x42ce8ed0
	v_cmp_nlt_f32_e32 vcc, s3, v20
	s_mov_b32 s3, 0xc2b17218
	v_ldexp_f32 v21, v21, v22
	v_cndmask_b32_e32 v21, 0, v21, vcc
	v_mov_b32_e32 v22, 0x7f800000
	v_cmp_ngt_f32_e32 vcc, s3, v20
	s_nop 1
	v_cndmask_b32_e32 v20, v22, v21, vcc
	v_sub_f32_e32 v20, 1.0, v20
.LBB0_6:
	s_andn2_saveexec_b64 s[0:1], s[0:1]
; %bb.7:
	v_mul_f32_e32 v20, v19, v19
	v_mov_b32_e32 v21, 0x3ba10414
	v_fmac_f32_e32 v21, 0xba1345e1, v20
	v_fmaak_f32 v21, v20, v21, 0xbcdac9b8
	v_fmaak_f32 v21, v20, v21, 0x3de703be
	;; [unrolled: 1-line block ×4, first 2 shown]
	v_fma_f32 v20, |v19|, v20, |v19|
; %bb.8:
	s_or_b64 exec, exec, s[0:1]
	v_mul_f32_e32 v21, 0x3f3504f3, v12
	v_cmp_nlt_f32_e64 s[0:1], |v21|, 1.0
                                        ; implicit-def: $vgpr22
	s_and_saveexec_b64 s[6:7], s[0:1]
	s_xor_b64 s[0:1], exec, s[6:7]
	s_cbranch_execz .LBB0_10
; %bb.9:
	s_mov_b32 s3, 0x378e98ab
	v_mov_b32_e32 v22, 0xb9c68948
	v_fma_f32 v22, |v21|, s3, v22
	s_mov_b32 s3, 0x3b7cd369
	v_fma_f32 v22, |v21|, v22, s3
	s_mov_b32 s3, 0xbcc618b2
	;; [unrolled: 2-line block ×5, first 2 shown]
	v_fma_f32 v22, |v21|, v22, s3
	v_fma_f32 v22, |v21|, v22, |v21|
	s_mov_b32 s3, 0xbfb8aa3b
	v_mul_f32_e32 v23, 0xbfb8aa3b, v22
	v_fma_f32 v24, v22, s3, -v23
	v_rndne_f32_e32 v25, v23
	v_fmamk_f32 v24, v22, 0xb2a5705f, v24
	v_sub_f32_e32 v23, v23, v25
	v_add_f32_e32 v23, v23, v24
	v_exp_f32_e32 v23, v23
	v_cvt_i32_f32_e32 v24, v25
	s_mov_b32 s3, 0x42ce8ed0
	v_cmp_nlt_f32_e32 vcc, s3, v22
	s_mov_b32 s3, 0xc2b17218
	v_ldexp_f32 v23, v23, v24
	v_cndmask_b32_e32 v23, 0, v23, vcc
	v_mov_b32_e32 v24, 0x7f800000
	v_cmp_ngt_f32_e32 vcc, s3, v22
	s_nop 1
	v_cndmask_b32_e32 v22, v24, v23, vcc
	v_sub_f32_e32 v22, 1.0, v22
.LBB0_10:
	s_andn2_saveexec_b64 s[0:1], s[0:1]
; %bb.11:
	v_mul_f32_e32 v22, v21, v21
	v_mov_b32_e32 v23, 0x3ba10414
	v_fmac_f32_e32 v23, 0xba1345e1, v22
	v_fmaak_f32 v23, v22, v23, 0xbcdac9b8
	v_fmaak_f32 v23, v22, v23, 0x3de703be
	;; [unrolled: 1-line block ×4, first 2 shown]
	v_fma_f32 v22, |v21|, v22, |v21|
; %bb.12:
	s_or_b64 exec, exec, s[0:1]
	v_mul_f32_e32 v23, 0x3f3504f3, v13
	v_cmp_nlt_f32_e64 s[0:1], |v23|, 1.0
                                        ; implicit-def: $vgpr24
	s_and_saveexec_b64 s[6:7], s[0:1]
	s_xor_b64 s[0:1], exec, s[6:7]
	s_cbranch_execz .LBB0_14
; %bb.13:
	s_mov_b32 s3, 0x378e98ab
	v_mov_b32_e32 v24, 0xb9c68948
	v_fma_f32 v24, |v23|, s3, v24
	s_mov_b32 s3, 0x3b7cd369
	v_fma_f32 v24, |v23|, v24, s3
	s_mov_b32 s3, 0xbcc618b2
	;; [unrolled: 2-line block ×5, first 2 shown]
	v_fma_f32 v24, |v23|, v24, s3
	v_fma_f32 v24, |v23|, v24, |v23|
	s_mov_b32 s3, 0xbfb8aa3b
	v_mul_f32_e32 v25, 0xbfb8aa3b, v24
	v_fma_f32 v26, v24, s3, -v25
	v_rndne_f32_e32 v27, v25
	v_fmamk_f32 v26, v24, 0xb2a5705f, v26
	v_sub_f32_e32 v25, v25, v27
	v_add_f32_e32 v25, v25, v26
	v_exp_f32_e32 v25, v25
	v_cvt_i32_f32_e32 v26, v27
	s_mov_b32 s3, 0x42ce8ed0
	v_cmp_nlt_f32_e32 vcc, s3, v24
	s_mov_b32 s3, 0xc2b17218
	v_ldexp_f32 v25, v25, v26
	v_cndmask_b32_e32 v25, 0, v25, vcc
	v_mov_b32_e32 v26, 0x7f800000
	v_cmp_ngt_f32_e32 vcc, s3, v24
	s_nop 1
	v_cndmask_b32_e32 v24, v26, v25, vcc
	v_sub_f32_e32 v24, 1.0, v24
.LBB0_14:
	s_andn2_saveexec_b64 s[0:1], s[0:1]
; %bb.15:
	v_mul_f32_e32 v24, v23, v23
	v_mov_b32_e32 v25, 0x3ba10414
	v_fmac_f32_e32 v25, 0xba1345e1, v24
	v_fmaak_f32 v25, v24, v25, 0xbcdac9b8
	v_fmaak_f32 v25, v24, v25, 0x3de703be
	;; [unrolled: 1-line block ×4, first 2 shown]
	v_fma_f32 v24, |v23|, v24, |v23|
; %bb.16:
	s_or_b64 exec, exec, s[0:1]
	v_mul_f32_e32 v25, 0x3f3504f3, v14
	v_cmp_nlt_f32_e64 s[0:1], |v25|, 1.0
                                        ; implicit-def: $vgpr26
	s_and_saveexec_b64 s[6:7], s[0:1]
	s_xor_b64 s[0:1], exec, s[6:7]
	s_cbranch_execz .LBB0_18
; %bb.17:
	s_mov_b32 s3, 0x378e98ab
	v_mov_b32_e32 v26, 0xb9c68948
	v_fma_f32 v26, |v25|, s3, v26
	s_mov_b32 s3, 0x3b7cd369
	v_fma_f32 v26, |v25|, v26, s3
	s_mov_b32 s3, 0xbcc618b2
	v_fma_f32 v26, |v25|, v26, s3
	s_mov_b32 s3, 0x3dda74e4
	v_fma_f32 v26, |v25|, v26, s3
	s_mov_b32 s3, 0x3f228afd
	v_fma_f32 v26, |v25|, v26, s3
	s_mov_b32 s3, 0x3e03c728
	v_fma_f32 v26, |v25|, v26, s3
	v_fma_f32 v26, |v25|, v26, |v25|
	s_mov_b32 s3, 0xbfb8aa3b
	v_mul_f32_e32 v27, 0xbfb8aa3b, v26
	v_fma_f32 v28, v26, s3, -v27
	v_rndne_f32_e32 v29, v27
	v_fmamk_f32 v28, v26, 0xb2a5705f, v28
	v_sub_f32_e32 v27, v27, v29
	v_add_f32_e32 v27, v27, v28
	v_exp_f32_e32 v27, v27
	v_cvt_i32_f32_e32 v28, v29
	s_mov_b32 s3, 0x42ce8ed0
	v_cmp_nlt_f32_e32 vcc, s3, v26
	s_mov_b32 s3, 0xc2b17218
	v_ldexp_f32 v27, v27, v28
	v_cndmask_b32_e32 v27, 0, v27, vcc
	v_mov_b32_e32 v28, 0x7f800000
	v_cmp_ngt_f32_e32 vcc, s3, v26
	s_nop 1
	v_cndmask_b32_e32 v26, v28, v27, vcc
	v_sub_f32_e32 v26, 1.0, v26
.LBB0_18:
	s_andn2_saveexec_b64 s[0:1], s[0:1]
; %bb.19:
	v_mul_f32_e32 v26, v25, v25
	v_mov_b32_e32 v27, 0x3ba10414
	v_fmac_f32_e32 v27, 0xba1345e1, v26
	v_fmaak_f32 v27, v26, v27, 0xbcdac9b8
	v_fmaak_f32 v27, v26, v27, 0x3de703be
	;; [unrolled: 1-line block ×4, first 2 shown]
	v_fma_f32 v26, |v25|, v26, |v25|
; %bb.20:
	s_or_b64 exec, exec, s[0:1]
	v_mul_f32_e32 v27, 0x3f3504f3, v15
	v_cmp_nlt_f32_e64 s[0:1], |v27|, 1.0
                                        ; implicit-def: $vgpr28
	s_and_saveexec_b64 s[6:7], s[0:1]
	s_xor_b64 s[0:1], exec, s[6:7]
	s_cbranch_execz .LBB0_22
; %bb.21:
	s_mov_b32 s3, 0x378e98ab
	v_mov_b32_e32 v28, 0xb9c68948
	v_fma_f32 v28, |v27|, s3, v28
	s_mov_b32 s3, 0x3b7cd369
	v_fma_f32 v28, |v27|, v28, s3
	s_mov_b32 s3, 0xbcc618b2
	;; [unrolled: 2-line block ×5, first 2 shown]
	v_fma_f32 v28, |v27|, v28, s3
	v_fma_f32 v28, |v27|, v28, |v27|
	s_mov_b32 s3, 0xbfb8aa3b
	v_mul_f32_e32 v29, 0xbfb8aa3b, v28
	v_fma_f32 v30, v28, s3, -v29
	v_rndne_f32_e32 v31, v29
	v_fmamk_f32 v30, v28, 0xb2a5705f, v30
	v_sub_f32_e32 v29, v29, v31
	v_add_f32_e32 v29, v29, v30
	v_exp_f32_e32 v29, v29
	v_cvt_i32_f32_e32 v30, v31
	s_mov_b32 s3, 0x42ce8ed0
	v_cmp_nlt_f32_e32 vcc, s3, v28
	s_mov_b32 s3, 0xc2b17218
	v_ldexp_f32 v29, v29, v30
	v_cndmask_b32_e32 v29, 0, v29, vcc
	v_mov_b32_e32 v30, 0x7f800000
	v_cmp_ngt_f32_e32 vcc, s3, v28
	s_nop 1
	v_cndmask_b32_e32 v28, v30, v29, vcc
	v_sub_f32_e32 v28, 1.0, v28
.LBB0_22:
	s_andn2_saveexec_b64 s[0:1], s[0:1]
; %bb.23:
	v_mul_f32_e32 v28, v27, v27
	v_mov_b32_e32 v29, 0x3ba10414
	v_fmac_f32_e32 v29, 0xba1345e1, v28
	v_fmaak_f32 v29, v28, v29, 0xbcdac9b8
	v_fmaak_f32 v29, v28, v29, 0x3de703be
	;; [unrolled: 1-line block ×4, first 2 shown]
	v_fma_f32 v28, |v27|, v28, |v27|
; %bb.24:
	s_or_b64 exec, exec, s[0:1]
	v_mul_f32_e32 v29, 0x3f3504f3, v16
	v_cmp_nlt_f32_e64 s[0:1], |v29|, 1.0
                                        ; implicit-def: $vgpr30
	s_and_saveexec_b64 s[6:7], s[0:1]
	s_xor_b64 s[0:1], exec, s[6:7]
	s_cbranch_execz .LBB0_26
; %bb.25:
	s_mov_b32 s3, 0x378e98ab
	v_mov_b32_e32 v30, 0xb9c68948
	v_fma_f32 v30, |v29|, s3, v30
	s_mov_b32 s3, 0x3b7cd369
	v_fma_f32 v30, |v29|, v30, s3
	s_mov_b32 s3, 0xbcc618b2
	v_fma_f32 v30, |v29|, v30, s3
	s_mov_b32 s3, 0x3dda74e4
	v_fma_f32 v30, |v29|, v30, s3
	s_mov_b32 s3, 0x3f228afd
	v_fma_f32 v30, |v29|, v30, s3
	s_mov_b32 s3, 0x3e03c728
	v_fma_f32 v30, |v29|, v30, s3
	v_fma_f32 v30, |v29|, v30, |v29|
	s_mov_b32 s3, 0xbfb8aa3b
	v_mul_f32_e32 v31, 0xbfb8aa3b, v30
	v_fma_f32 v32, v30, s3, -v31
	v_rndne_f32_e32 v33, v31
	v_fmamk_f32 v32, v30, 0xb2a5705f, v32
	v_sub_f32_e32 v31, v31, v33
	v_add_f32_e32 v31, v31, v32
	v_exp_f32_e32 v31, v31
	v_cvt_i32_f32_e32 v32, v33
	s_mov_b32 s3, 0x42ce8ed0
	v_cmp_nlt_f32_e32 vcc, s3, v30
	s_mov_b32 s3, 0xc2b17218
	v_ldexp_f32 v31, v31, v32
	v_cndmask_b32_e32 v31, 0, v31, vcc
	v_mov_b32_e32 v32, 0x7f800000
	v_cmp_ngt_f32_e32 vcc, s3, v30
	s_nop 1
	v_cndmask_b32_e32 v30, v32, v31, vcc
	v_sub_f32_e32 v30, 1.0, v30
.LBB0_26:
	s_andn2_saveexec_b64 s[0:1], s[0:1]
; %bb.27:
	v_mul_f32_e32 v30, v29, v29
	v_mov_b32_e32 v31, 0x3ba10414
	v_fmac_f32_e32 v31, 0xba1345e1, v30
	v_fmaak_f32 v31, v30, v31, 0xbcdac9b8
	v_fmaak_f32 v31, v30, v31, 0x3de703be
	;; [unrolled: 1-line block ×4, first 2 shown]
	v_fma_f32 v30, |v29|, v30, |v29|
; %bb.28:
	s_or_b64 exec, exec, s[0:1]
	v_mul_f32_e32 v31, 0x3f3504f3, v17
	v_lshlrev_b32_e32 v0, 3, v0
	v_cmp_nlt_f32_e64 s[0:1], |v31|, 1.0
                                        ; implicit-def: $vgpr32
	s_and_saveexec_b64 s[6:7], s[0:1]
	s_xor_b64 s[0:1], exec, s[6:7]
	s_cbranch_execz .LBB0_30
; %bb.29:
	s_mov_b32 s3, 0x378e98ab
	v_mov_b32_e32 v32, 0xb9c68948
	v_fma_f32 v32, |v31|, s3, v32
	s_mov_b32 s3, 0x3b7cd369
	v_fma_f32 v32, |v31|, v32, s3
	s_mov_b32 s3, 0xbcc618b2
	;; [unrolled: 2-line block ×5, first 2 shown]
	v_fma_f32 v32, |v31|, v32, s3
	v_fma_f32 v32, |v31|, v32, |v31|
	s_mov_b32 s3, 0xbfb8aa3b
	v_mul_f32_e32 v33, 0xbfb8aa3b, v32
	v_fma_f32 v34, v32, s3, -v33
	v_rndne_f32_e32 v35, v33
	v_fmamk_f32 v34, v32, 0xb2a5705f, v34
	v_sub_f32_e32 v33, v33, v35
	v_add_f32_e32 v33, v33, v34
	v_exp_f32_e32 v33, v33
	v_cvt_i32_f32_e32 v34, v35
	s_mov_b32 s3, 0x42ce8ed0
	v_cmp_nlt_f32_e32 vcc, s3, v32
	s_mov_b32 s3, 0xc2b17218
	v_ldexp_f32 v33, v33, v34
	v_cndmask_b32_e32 v33, 0, v33, vcc
	v_mov_b32_e32 v34, 0x7f800000
	v_cmp_ngt_f32_e32 vcc, s3, v32
	s_nop 1
	v_cndmask_b32_e32 v32, v34, v33, vcc
	v_sub_f32_e32 v32, 1.0, v32
.LBB0_30:
	s_andn2_saveexec_b64 s[0:1], s[0:1]
; %bb.31:
	v_mul_f32_e32 v32, v31, v31
	v_mov_b32_e32 v33, 0x3ba10414
	v_fmac_f32_e32 v33, 0xba1345e1, v32
	v_fmaak_f32 v33, v32, v33, 0xbcdac9b8
	v_fmaak_f32 v33, v32, v33, 0x3de703be
	;; [unrolled: 1-line block ×4, first 2 shown]
	v_fma_f32 v32, |v31|, v32, |v31|
; %bb.32:
	s_or_b64 exec, exec, s[0:1]
	s_brev_b32 s0, -2
	v_bfi_b32 v19, s0, v20, v19
	v_bfi_b32 v18, s0, v18, v1
	v_pk_mul_f32 v[10:11], v[10:11], 0.5 op_sel_hi:[1,0]
	v_lshlrev_b32_e32 v20, 2, v0
	v_pk_add_f32 v[0:1], v[18:19], 1.0 op_sel_hi:[1,0]
	v_bfi_b32 v23, s0, v24, v23
	v_bfi_b32 v22, s0, v22, v21
	v_pk_mul_f32 v[0:1], v[10:11], v[0:1]
	v_pk_mul_f32 v[12:13], v[12:13], 0.5 op_sel_hi:[1,0]
	s_waitcnt vmcnt(0)
	v_pk_mul_f32 v[6:7], v[6:7], v[0:1]
	v_pk_add_f32 v[0:1], v[22:23], 1.0 op_sel_hi:[1,0]
	v_bfi_b32 v27, s0, v28, v27
	v_bfi_b32 v26, s0, v26, v25
	v_pk_mul_f32 v[0:1], v[12:13], v[0:1]
	v_pk_mul_f32 v[14:15], v[14:15], 0.5 op_sel_hi:[1,0]
	v_pk_mul_f32 v[8:9], v[8:9], v[0:1]
	v_pk_add_f32 v[0:1], v[26:27], 1.0 op_sel_hi:[1,0]
	v_bfi_b32 v31, s0, v32, v31
	v_bfi_b32 v30, s0, v30, v29
	v_pk_mul_f32 v[0:1], v[14:15], v[0:1]
	v_pk_mul_f32 v[16:17], v[16:17], 0.5 op_sel_hi:[1,0]
	s_mul_hi_i32 s1, s2, 0x1400
	s_mulk_i32 s2, 0x1400
	v_pk_mul_f32 v[0:1], v[2:3], v[0:1]
	v_pk_add_f32 v[2:3], v[30:31], 1.0 op_sel_hi:[1,0]
	s_add_u32 s0, s4, s2
	v_pk_mul_f32 v[2:3], v[16:17], v[2:3]
	s_addc_u32 s1, s5, s1
	v_pk_mul_f32 v[2:3], v[4:5], v[2:3]
	global_store_dwordx4 v20, v[6:9], s[0:1]
	global_store_dwordx4 v20, v[0:3], s[0:1] offset:16
	s_endpgm
	.section	.rodata,"a",@progbits
	.p2align	6, 0x0
	.amdhsa_kernel _Z12geglu_kernelIffLi160ELi1280ELi8ELi1EEvPT_PKS0_
		.amdhsa_group_segment_fixed_size 0
		.amdhsa_private_segment_fixed_size 0
		.amdhsa_kernarg_size 16
		.amdhsa_user_sgpr_count 2
		.amdhsa_user_sgpr_dispatch_ptr 0
		.amdhsa_user_sgpr_queue_ptr 0
		.amdhsa_user_sgpr_kernarg_segment_ptr 1
		.amdhsa_user_sgpr_dispatch_id 0
		.amdhsa_user_sgpr_kernarg_preload_length 0
		.amdhsa_user_sgpr_kernarg_preload_offset 0
		.amdhsa_user_sgpr_private_segment_size 0
		.amdhsa_uses_dynamic_stack 0
		.amdhsa_enable_private_segment 0
		.amdhsa_system_sgpr_workgroup_id_x 1
		.amdhsa_system_sgpr_workgroup_id_y 0
		.amdhsa_system_sgpr_workgroup_id_z 0
		.amdhsa_system_sgpr_workgroup_info 0
		.amdhsa_system_vgpr_workitem_id 0
		.amdhsa_next_free_vgpr 36
		.amdhsa_next_free_sgpr 9
		.amdhsa_accum_offset 36
		.amdhsa_reserve_vcc 1
		.amdhsa_float_round_mode_32 0
		.amdhsa_float_round_mode_16_64 0
		.amdhsa_float_denorm_mode_32 3
		.amdhsa_float_denorm_mode_16_64 3
		.amdhsa_dx10_clamp 1
		.amdhsa_ieee_mode 1
		.amdhsa_fp16_overflow 0
		.amdhsa_tg_split 0
		.amdhsa_exception_fp_ieee_invalid_op 0
		.amdhsa_exception_fp_denorm_src 0
		.amdhsa_exception_fp_ieee_div_zero 0
		.amdhsa_exception_fp_ieee_overflow 0
		.amdhsa_exception_fp_ieee_underflow 0
		.amdhsa_exception_fp_ieee_inexact 0
		.amdhsa_exception_int_div_zero 0
	.end_amdhsa_kernel
	.section	.text._Z12geglu_kernelIffLi160ELi1280ELi8ELi1EEvPT_PKS0_,"axG",@progbits,_Z12geglu_kernelIffLi160ELi1280ELi8ELi1EEvPT_PKS0_,comdat
.Lfunc_end0:
	.size	_Z12geglu_kernelIffLi160ELi1280ELi8ELi1EEvPT_PKS0_, .Lfunc_end0-_Z12geglu_kernelIffLi160ELi1280ELi8ELi1EEvPT_PKS0_
                                        ; -- End function
	.set _Z12geglu_kernelIffLi160ELi1280ELi8ELi1EEvPT_PKS0_.num_vgpr, 36
	.set _Z12geglu_kernelIffLi160ELi1280ELi8ELi1EEvPT_PKS0_.num_agpr, 0
	.set _Z12geglu_kernelIffLi160ELi1280ELi8ELi1EEvPT_PKS0_.numbered_sgpr, 9
	.set _Z12geglu_kernelIffLi160ELi1280ELi8ELi1EEvPT_PKS0_.num_named_barrier, 0
	.set _Z12geglu_kernelIffLi160ELi1280ELi8ELi1EEvPT_PKS0_.private_seg_size, 0
	.set _Z12geglu_kernelIffLi160ELi1280ELi8ELi1EEvPT_PKS0_.uses_vcc, 1
	.set _Z12geglu_kernelIffLi160ELi1280ELi8ELi1EEvPT_PKS0_.uses_flat_scratch, 0
	.set _Z12geglu_kernelIffLi160ELi1280ELi8ELi1EEvPT_PKS0_.has_dyn_sized_stack, 0
	.set _Z12geglu_kernelIffLi160ELi1280ELi8ELi1EEvPT_PKS0_.has_recursion, 0
	.set _Z12geglu_kernelIffLi160ELi1280ELi8ELi1EEvPT_PKS0_.has_indirect_call, 0
	.section	.AMDGPU.csdata,"",@progbits
; Kernel info:
; codeLenInByte = 2880
; TotalNumSgprs: 15
; NumVgprs: 36
; NumAgprs: 0
; TotalNumVgprs: 36
; ScratchSize: 0
; MemoryBound: 0
; FloatMode: 240
; IeeeMode: 1
; LDSByteSize: 0 bytes/workgroup (compile time only)
; SGPRBlocks: 1
; VGPRBlocks: 4
; NumSGPRsForWavesPerEU: 15
; NumVGPRsForWavesPerEU: 36
; AccumOffset: 36
; Occupancy: 8
; WaveLimiterHint : 0
; COMPUTE_PGM_RSRC2:SCRATCH_EN: 0
; COMPUTE_PGM_RSRC2:USER_SGPR: 2
; COMPUTE_PGM_RSRC2:TRAP_HANDLER: 0
; COMPUTE_PGM_RSRC2:TGID_X_EN: 1
; COMPUTE_PGM_RSRC2:TGID_Y_EN: 0
; COMPUTE_PGM_RSRC2:TGID_Z_EN: 0
; COMPUTE_PGM_RSRC2:TIDIG_COMP_CNT: 0
; COMPUTE_PGM_RSRC3_GFX90A:ACCUM_OFFSET: 8
; COMPUTE_PGM_RSRC3_GFX90A:TG_SPLIT: 0
	.section	.text._Z12geglu_kernelIffLi160ELi2560ELi8ELi1EEvPT_PKS0_,"axG",@progbits,_Z12geglu_kernelIffLi160ELi2560ELi8ELi1EEvPT_PKS0_,comdat
	.protected	_Z12geglu_kernelIffLi160ELi2560ELi8ELi1EEvPT_PKS0_ ; -- Begin function _Z12geglu_kernelIffLi160ELi2560ELi8ELi1EEvPT_PKS0_
	.globl	_Z12geglu_kernelIffLi160ELi2560ELi8ELi1EEvPT_PKS0_
	.p2align	8
	.type	_Z12geglu_kernelIffLi160ELi2560ELi8ELi1EEvPT_PKS0_,@function
_Z12geglu_kernelIffLi160ELi2560ELi8ELi1EEvPT_PKS0_: ; @_Z12geglu_kernelIffLi160ELi2560ELi8ELi1EEvPT_PKS0_
; %bb.0:
	s_load_dwordx4 s[4:7], s[0:1], 0x0
	s_and_b32 s0, s2, -2
	s_bitcmp1_b32 s2, 0
	s_cselect_b32 s1, 0xa0, 0
	v_add_u32_e32 v18, s1, v0
	s_mul_hi_u32 s1, s0, 0x2800
	s_mulk_i32 s0, 0x2800
	s_waitcnt lgkmcnt(0)
	s_add_u32 s0, s6, s0
	s_addc_u32 s1, s7, s1
	s_or_b32 s3, s2, 1
	s_mul_hi_u32 s8, s3, 0x2800
	s_mulk_i32 s3, 0x2800
	s_add_u32 s6, s6, s3
	v_lshlrev_b32_e32 v16, 5, v18
	s_addc_u32 s7, s7, s8
	global_load_dwordx4 v[12:15], v16, s[6:7] offset:16
	global_load_dwordx4 v[8:11], v16, s[6:7]
	global_load_dwordx4 v[0:3], v16, s[0:1] offset:16
	global_load_dwordx4 v[4:7], v16, s[0:1]
                                        ; implicit-def: $vgpr17
	s_waitcnt vmcnt(2)
	v_mul_f32_e32 v16, 0x3f3504f3, v8
	v_cmp_nlt_f32_e64 s[0:1], |v16|, 1.0
	s_and_saveexec_b64 s[6:7], s[0:1]
	s_xor_b64 s[0:1], exec, s[6:7]
	s_cbranch_execz .LBB1_2
; %bb.1:
	s_mov_b32 s3, 0x378e98ab
	v_mov_b32_e32 v17, 0xb9c68948
	v_fma_f32 v17, |v16|, s3, v17
	s_mov_b32 s3, 0x3b7cd369
	v_fma_f32 v17, |v16|, v17, s3
	s_mov_b32 s3, 0xbcc618b2
	;; [unrolled: 2-line block ×5, first 2 shown]
	v_fma_f32 v17, |v16|, v17, s3
	v_fma_f32 v17, |v16|, v17, |v16|
	s_mov_b32 s3, 0xbfb8aa3b
	v_mul_f32_e32 v19, 0xbfb8aa3b, v17
	v_fma_f32 v20, v17, s3, -v19
	v_rndne_f32_e32 v21, v19
	v_fmamk_f32 v20, v17, 0xb2a5705f, v20
	v_sub_f32_e32 v19, v19, v21
	v_add_f32_e32 v19, v19, v20
	v_exp_f32_e32 v19, v19
	v_cvt_i32_f32_e32 v20, v21
	s_mov_b32 s3, 0x42ce8ed0
	v_cmp_nlt_f32_e32 vcc, s3, v17
	s_mov_b32 s3, 0xc2b17218
	v_ldexp_f32 v19, v19, v20
	v_cndmask_b32_e32 v19, 0, v19, vcc
	v_mov_b32_e32 v20, 0x7f800000
	v_cmp_ngt_f32_e32 vcc, s3, v17
	s_nop 1
	v_cndmask_b32_e32 v17, v20, v19, vcc
	v_sub_f32_e32 v17, 1.0, v17
.LBB1_2:
	s_andn2_saveexec_b64 s[0:1], s[0:1]
; %bb.3:
	v_mul_f32_e32 v17, v16, v16
	v_mov_b32_e32 v19, 0x3ba10414
	v_fmac_f32_e32 v19, 0xba1345e1, v17
	v_fmaak_f32 v19, v17, v19, 0xbcdac9b8
	v_fmaak_f32 v19, v17, v19, 0x3de703be
	;; [unrolled: 1-line block ×4, first 2 shown]
	v_fma_f32 v17, |v16|, v17, |v16|
; %bb.4:
	s_or_b64 exec, exec, s[0:1]
	v_mul_f32_e32 v19, 0x3f3504f3, v9
	v_cmp_nlt_f32_e64 s[0:1], |v19|, 1.0
                                        ; implicit-def: $vgpr20
	s_and_saveexec_b64 s[6:7], s[0:1]
	s_xor_b64 s[0:1], exec, s[6:7]
	s_cbranch_execz .LBB1_6
; %bb.5:
	s_mov_b32 s3, 0x378e98ab
	v_mov_b32_e32 v20, 0xb9c68948
	v_fma_f32 v20, |v19|, s3, v20
	s_mov_b32 s3, 0x3b7cd369
	v_fma_f32 v20, |v19|, v20, s3
	s_mov_b32 s3, 0xbcc618b2
	;; [unrolled: 2-line block ×5, first 2 shown]
	v_fma_f32 v20, |v19|, v20, s3
	v_fma_f32 v20, |v19|, v20, |v19|
	s_mov_b32 s3, 0xbfb8aa3b
	v_mul_f32_e32 v21, 0xbfb8aa3b, v20
	v_fma_f32 v22, v20, s3, -v21
	v_rndne_f32_e32 v23, v21
	v_fmamk_f32 v22, v20, 0xb2a5705f, v22
	v_sub_f32_e32 v21, v21, v23
	v_add_f32_e32 v21, v21, v22
	v_exp_f32_e32 v21, v21
	v_cvt_i32_f32_e32 v22, v23
	s_mov_b32 s3, 0x42ce8ed0
	v_cmp_nlt_f32_e32 vcc, s3, v20
	s_mov_b32 s3, 0xc2b17218
	v_ldexp_f32 v21, v21, v22
	v_cndmask_b32_e32 v21, 0, v21, vcc
	v_mov_b32_e32 v22, 0x7f800000
	v_cmp_ngt_f32_e32 vcc, s3, v20
	s_nop 1
	v_cndmask_b32_e32 v20, v22, v21, vcc
	v_sub_f32_e32 v20, 1.0, v20
.LBB1_6:
	s_andn2_saveexec_b64 s[0:1], s[0:1]
; %bb.7:
	v_mul_f32_e32 v20, v19, v19
	v_mov_b32_e32 v21, 0x3ba10414
	v_fmac_f32_e32 v21, 0xba1345e1, v20
	v_fmaak_f32 v21, v20, v21, 0xbcdac9b8
	v_fmaak_f32 v21, v20, v21, 0x3de703be
	;; [unrolled: 1-line block ×4, first 2 shown]
	v_fma_f32 v20, |v19|, v20, |v19|
; %bb.8:
	s_or_b64 exec, exec, s[0:1]
	v_mul_f32_e32 v21, 0x3f3504f3, v10
	v_cmp_nlt_f32_e64 s[0:1], |v21|, 1.0
                                        ; implicit-def: $vgpr22
	s_and_saveexec_b64 s[6:7], s[0:1]
	s_xor_b64 s[0:1], exec, s[6:7]
	s_cbranch_execz .LBB1_10
; %bb.9:
	s_mov_b32 s3, 0x378e98ab
	v_mov_b32_e32 v22, 0xb9c68948
	v_fma_f32 v22, |v21|, s3, v22
	s_mov_b32 s3, 0x3b7cd369
	v_fma_f32 v22, |v21|, v22, s3
	s_mov_b32 s3, 0xbcc618b2
	;; [unrolled: 2-line block ×5, first 2 shown]
	v_fma_f32 v22, |v21|, v22, s3
	v_fma_f32 v22, |v21|, v22, |v21|
	s_mov_b32 s3, 0xbfb8aa3b
	v_mul_f32_e32 v23, 0xbfb8aa3b, v22
	v_fma_f32 v24, v22, s3, -v23
	v_rndne_f32_e32 v25, v23
	v_fmamk_f32 v24, v22, 0xb2a5705f, v24
	v_sub_f32_e32 v23, v23, v25
	v_add_f32_e32 v23, v23, v24
	v_exp_f32_e32 v23, v23
	v_cvt_i32_f32_e32 v24, v25
	s_mov_b32 s3, 0x42ce8ed0
	v_cmp_nlt_f32_e32 vcc, s3, v22
	s_mov_b32 s3, 0xc2b17218
	v_ldexp_f32 v23, v23, v24
	v_cndmask_b32_e32 v23, 0, v23, vcc
	v_mov_b32_e32 v24, 0x7f800000
	v_cmp_ngt_f32_e32 vcc, s3, v22
	s_nop 1
	v_cndmask_b32_e32 v22, v24, v23, vcc
	v_sub_f32_e32 v22, 1.0, v22
.LBB1_10:
	s_andn2_saveexec_b64 s[0:1], s[0:1]
; %bb.11:
	v_mul_f32_e32 v22, v21, v21
	v_mov_b32_e32 v23, 0x3ba10414
	v_fmac_f32_e32 v23, 0xba1345e1, v22
	v_fmaak_f32 v23, v22, v23, 0xbcdac9b8
	v_fmaak_f32 v23, v22, v23, 0x3de703be
	;; [unrolled: 1-line block ×4, first 2 shown]
	v_fma_f32 v22, |v21|, v22, |v21|
; %bb.12:
	s_or_b64 exec, exec, s[0:1]
	v_mul_f32_e32 v23, 0x3f3504f3, v11
	v_cmp_nlt_f32_e64 s[0:1], |v23|, 1.0
                                        ; implicit-def: $vgpr24
	s_and_saveexec_b64 s[6:7], s[0:1]
	s_xor_b64 s[0:1], exec, s[6:7]
	s_cbranch_execz .LBB1_14
; %bb.13:
	s_mov_b32 s3, 0x378e98ab
	v_mov_b32_e32 v24, 0xb9c68948
	v_fma_f32 v24, |v23|, s3, v24
	s_mov_b32 s3, 0x3b7cd369
	v_fma_f32 v24, |v23|, v24, s3
	s_mov_b32 s3, 0xbcc618b2
	;; [unrolled: 2-line block ×5, first 2 shown]
	v_fma_f32 v24, |v23|, v24, s3
	v_fma_f32 v24, |v23|, v24, |v23|
	s_mov_b32 s3, 0xbfb8aa3b
	v_mul_f32_e32 v25, 0xbfb8aa3b, v24
	v_fma_f32 v26, v24, s3, -v25
	v_rndne_f32_e32 v27, v25
	v_fmamk_f32 v26, v24, 0xb2a5705f, v26
	v_sub_f32_e32 v25, v25, v27
	v_add_f32_e32 v25, v25, v26
	v_exp_f32_e32 v25, v25
	v_cvt_i32_f32_e32 v26, v27
	s_mov_b32 s3, 0x42ce8ed0
	v_cmp_nlt_f32_e32 vcc, s3, v24
	s_mov_b32 s3, 0xc2b17218
	v_ldexp_f32 v25, v25, v26
	v_cndmask_b32_e32 v25, 0, v25, vcc
	v_mov_b32_e32 v26, 0x7f800000
	v_cmp_ngt_f32_e32 vcc, s3, v24
	s_nop 1
	v_cndmask_b32_e32 v24, v26, v25, vcc
	v_sub_f32_e32 v24, 1.0, v24
.LBB1_14:
	s_andn2_saveexec_b64 s[0:1], s[0:1]
; %bb.15:
	v_mul_f32_e32 v24, v23, v23
	v_mov_b32_e32 v25, 0x3ba10414
	v_fmac_f32_e32 v25, 0xba1345e1, v24
	v_fmaak_f32 v25, v24, v25, 0xbcdac9b8
	v_fmaak_f32 v25, v24, v25, 0x3de703be
	;; [unrolled: 1-line block ×4, first 2 shown]
	v_fma_f32 v24, |v23|, v24, |v23|
; %bb.16:
	s_or_b64 exec, exec, s[0:1]
	v_mul_f32_e32 v25, 0x3f3504f3, v12
	v_cmp_nlt_f32_e64 s[0:1], |v25|, 1.0
                                        ; implicit-def: $vgpr26
	s_and_saveexec_b64 s[6:7], s[0:1]
	s_xor_b64 s[0:1], exec, s[6:7]
	s_cbranch_execz .LBB1_18
; %bb.17:
	s_mov_b32 s3, 0x378e98ab
	v_mov_b32_e32 v26, 0xb9c68948
	v_fma_f32 v26, |v25|, s3, v26
	s_mov_b32 s3, 0x3b7cd369
	v_fma_f32 v26, |v25|, v26, s3
	s_mov_b32 s3, 0xbcc618b2
	;; [unrolled: 2-line block ×5, first 2 shown]
	v_fma_f32 v26, |v25|, v26, s3
	v_fma_f32 v26, |v25|, v26, |v25|
	s_mov_b32 s3, 0xbfb8aa3b
	v_mul_f32_e32 v27, 0xbfb8aa3b, v26
	v_fma_f32 v28, v26, s3, -v27
	v_rndne_f32_e32 v29, v27
	v_fmamk_f32 v28, v26, 0xb2a5705f, v28
	v_sub_f32_e32 v27, v27, v29
	v_add_f32_e32 v27, v27, v28
	v_exp_f32_e32 v27, v27
	v_cvt_i32_f32_e32 v28, v29
	s_mov_b32 s3, 0x42ce8ed0
	v_cmp_nlt_f32_e32 vcc, s3, v26
	s_mov_b32 s3, 0xc2b17218
	v_ldexp_f32 v27, v27, v28
	v_cndmask_b32_e32 v27, 0, v27, vcc
	v_mov_b32_e32 v28, 0x7f800000
	v_cmp_ngt_f32_e32 vcc, s3, v26
	s_nop 1
	v_cndmask_b32_e32 v26, v28, v27, vcc
	v_sub_f32_e32 v26, 1.0, v26
.LBB1_18:
	s_andn2_saveexec_b64 s[0:1], s[0:1]
; %bb.19:
	v_mul_f32_e32 v26, v25, v25
	v_mov_b32_e32 v27, 0x3ba10414
	v_fmac_f32_e32 v27, 0xba1345e1, v26
	v_fmaak_f32 v27, v26, v27, 0xbcdac9b8
	v_fmaak_f32 v27, v26, v27, 0x3de703be
	;; [unrolled: 1-line block ×4, first 2 shown]
	v_fma_f32 v26, |v25|, v26, |v25|
; %bb.20:
	s_or_b64 exec, exec, s[0:1]
	v_mul_f32_e32 v27, 0x3f3504f3, v13
	v_cmp_nlt_f32_e64 s[0:1], |v27|, 1.0
                                        ; implicit-def: $vgpr28
	s_and_saveexec_b64 s[6:7], s[0:1]
	s_xor_b64 s[0:1], exec, s[6:7]
	s_cbranch_execz .LBB1_22
; %bb.21:
	s_mov_b32 s3, 0x378e98ab
	v_mov_b32_e32 v28, 0xb9c68948
	v_fma_f32 v28, |v27|, s3, v28
	s_mov_b32 s3, 0x3b7cd369
	v_fma_f32 v28, |v27|, v28, s3
	s_mov_b32 s3, 0xbcc618b2
	;; [unrolled: 2-line block ×5, first 2 shown]
	v_fma_f32 v28, |v27|, v28, s3
	v_fma_f32 v28, |v27|, v28, |v27|
	s_mov_b32 s3, 0xbfb8aa3b
	v_mul_f32_e32 v29, 0xbfb8aa3b, v28
	v_fma_f32 v30, v28, s3, -v29
	v_rndne_f32_e32 v31, v29
	v_fmamk_f32 v30, v28, 0xb2a5705f, v30
	v_sub_f32_e32 v29, v29, v31
	v_add_f32_e32 v29, v29, v30
	v_exp_f32_e32 v29, v29
	v_cvt_i32_f32_e32 v30, v31
	s_mov_b32 s3, 0x42ce8ed0
	v_cmp_nlt_f32_e32 vcc, s3, v28
	s_mov_b32 s3, 0xc2b17218
	v_ldexp_f32 v29, v29, v30
	v_cndmask_b32_e32 v29, 0, v29, vcc
	v_mov_b32_e32 v30, 0x7f800000
	v_cmp_ngt_f32_e32 vcc, s3, v28
	s_nop 1
	v_cndmask_b32_e32 v28, v30, v29, vcc
	v_sub_f32_e32 v28, 1.0, v28
.LBB1_22:
	s_andn2_saveexec_b64 s[0:1], s[0:1]
; %bb.23:
	v_mul_f32_e32 v28, v27, v27
	v_mov_b32_e32 v29, 0x3ba10414
	v_fmac_f32_e32 v29, 0xba1345e1, v28
	v_fmaak_f32 v29, v28, v29, 0xbcdac9b8
	v_fmaak_f32 v29, v28, v29, 0x3de703be
	v_fmaak_f32 v29, v28, v29, 0xbec09330
	v_fmaak_f32 v28, v28, v29, 0x3e0375d0
	v_fma_f32 v28, |v27|, v28, |v27|
; %bb.24:
	s_or_b64 exec, exec, s[0:1]
	v_mul_f32_e32 v29, 0x3f3504f3, v14
	v_cmp_nlt_f32_e64 s[0:1], |v29|, 1.0
                                        ; implicit-def: $vgpr30
	s_and_saveexec_b64 s[6:7], s[0:1]
	s_xor_b64 s[0:1], exec, s[6:7]
	s_cbranch_execz .LBB1_26
; %bb.25:
	s_mov_b32 s3, 0x378e98ab
	v_mov_b32_e32 v30, 0xb9c68948
	v_fma_f32 v30, |v29|, s3, v30
	s_mov_b32 s3, 0x3b7cd369
	v_fma_f32 v30, |v29|, v30, s3
	s_mov_b32 s3, 0xbcc618b2
	;; [unrolled: 2-line block ×5, first 2 shown]
	v_fma_f32 v30, |v29|, v30, s3
	v_fma_f32 v30, |v29|, v30, |v29|
	s_mov_b32 s3, 0xbfb8aa3b
	v_mul_f32_e32 v31, 0xbfb8aa3b, v30
	v_fma_f32 v32, v30, s3, -v31
	v_rndne_f32_e32 v33, v31
	v_fmamk_f32 v32, v30, 0xb2a5705f, v32
	v_sub_f32_e32 v31, v31, v33
	v_add_f32_e32 v31, v31, v32
	v_exp_f32_e32 v31, v31
	v_cvt_i32_f32_e32 v32, v33
	s_mov_b32 s3, 0x42ce8ed0
	v_cmp_nlt_f32_e32 vcc, s3, v30
	s_mov_b32 s3, 0xc2b17218
	v_ldexp_f32 v31, v31, v32
	v_cndmask_b32_e32 v31, 0, v31, vcc
	v_mov_b32_e32 v32, 0x7f800000
	v_cmp_ngt_f32_e32 vcc, s3, v30
	s_nop 1
	v_cndmask_b32_e32 v30, v32, v31, vcc
	v_sub_f32_e32 v30, 1.0, v30
.LBB1_26:
	s_andn2_saveexec_b64 s[0:1], s[0:1]
; %bb.27:
	v_mul_f32_e32 v30, v29, v29
	v_mov_b32_e32 v31, 0x3ba10414
	v_fmac_f32_e32 v31, 0xba1345e1, v30
	v_fmaak_f32 v31, v30, v31, 0xbcdac9b8
	v_fmaak_f32 v31, v30, v31, 0x3de703be
	;; [unrolled: 1-line block ×4, first 2 shown]
	v_fma_f32 v30, |v29|, v30, |v29|
; %bb.28:
	s_or_b64 exec, exec, s[0:1]
	v_mul_f32_e32 v31, 0x3f3504f3, v15
	v_lshlrev_b32_e32 v18, 3, v18
	v_cmp_nlt_f32_e64 s[0:1], |v31|, 1.0
                                        ; implicit-def: $vgpr32
	s_and_saveexec_b64 s[6:7], s[0:1]
	s_xor_b64 s[0:1], exec, s[6:7]
	s_cbranch_execz .LBB1_30
; %bb.29:
	s_mov_b32 s3, 0x378e98ab
	v_mov_b32_e32 v32, 0xb9c68948
	v_fma_f32 v32, |v31|, s3, v32
	s_mov_b32 s3, 0x3b7cd369
	v_fma_f32 v32, |v31|, v32, s3
	s_mov_b32 s3, 0xbcc618b2
	v_fma_f32 v32, |v31|, v32, s3
	s_mov_b32 s3, 0x3dda74e4
	v_fma_f32 v32, |v31|, v32, s3
	s_mov_b32 s3, 0x3f228afd
	v_fma_f32 v32, |v31|, v32, s3
	s_mov_b32 s3, 0x3e03c728
	v_fma_f32 v32, |v31|, v32, s3
	v_fma_f32 v32, |v31|, v32, |v31|
	s_mov_b32 s3, 0xbfb8aa3b
	v_mul_f32_e32 v33, 0xbfb8aa3b, v32
	v_fma_f32 v34, v32, s3, -v33
	v_rndne_f32_e32 v35, v33
	v_fmamk_f32 v34, v32, 0xb2a5705f, v34
	v_sub_f32_e32 v33, v33, v35
	v_add_f32_e32 v33, v33, v34
	v_exp_f32_e32 v33, v33
	v_cvt_i32_f32_e32 v34, v35
	s_mov_b32 s3, 0x42ce8ed0
	v_cmp_nlt_f32_e32 vcc, s3, v32
	s_mov_b32 s3, 0xc2b17218
	v_ldexp_f32 v33, v33, v34
	v_cndmask_b32_e32 v33, 0, v33, vcc
	v_mov_b32_e32 v34, 0x7f800000
	v_cmp_ngt_f32_e32 vcc, s3, v32
	s_nop 1
	v_cndmask_b32_e32 v32, v34, v33, vcc
	v_sub_f32_e32 v32, 1.0, v32
.LBB1_30:
	s_andn2_saveexec_b64 s[0:1], s[0:1]
; %bb.31:
	v_mul_f32_e32 v32, v31, v31
	v_mov_b32_e32 v33, 0x3ba10414
	v_fmac_f32_e32 v33, 0xba1345e1, v32
	v_fmaak_f32 v33, v32, v33, 0xbcdac9b8
	v_fmaak_f32 v33, v32, v33, 0x3de703be
	v_fmaak_f32 v33, v32, v33, 0xbec09330
	v_fmaak_f32 v32, v32, v33, 0x3e0375d0
	v_fma_f32 v32, |v31|, v32, |v31|
; %bb.32:
	s_or_b64 exec, exec, s[0:1]
	s_brev_b32 s0, -2
	v_bfi_b32 v22, s0, v22, v21
	v_bfi_b32 v21, s0, v20, v19
	;; [unrolled: 1-line block ×3, first 2 shown]
	v_pk_mul_f32 v[8:9], v[8:9], 0.5 op_sel_hi:[1,0]
	v_pk_add_f32 v[16:17], v[20:21], 1.0 op_sel_hi:[1,0]
	v_bfi_b32 v31, s0, v32, v31
	v_bfi_b32 v30, s0, v30, v29
	;; [unrolled: 1-line block ×5, first 2 shown]
	s_lshr_b32 s0, s2, 1
	v_pk_mul_f32 v[8:9], v[8:9], v[16:17]
	v_pk_mul_f32 v[10:11], v[10:11], 0.5 op_sel_hi:[1,0]
	s_mul_hi_u32 s1, s0, 0x2800
	s_mulk_i32 s0, 0x2800
	s_waitcnt vmcnt(0)
	v_pk_mul_f32 v[4:5], v[4:5], v[8:9]
	v_pk_add_f32 v[8:9], v[22:23], 1.0 op_sel_hi:[1,0]
	s_add_u32 s0, s4, s0
	v_pk_mul_f32 v[8:9], v[10:11], v[8:9]
	s_addc_u32 s1, s5, s1
	v_lshlrev_b32_e32 v18, 2, v18
	v_pk_mul_f32 v[6:7], v[6:7], v[8:9]
	v_pk_mul_f32 v[12:13], v[12:13], 0.5 op_sel_hi:[1,0]
	global_store_dwordx4 v18, v[4:7], s[0:1]
	v_pk_mul_f32 v[14:15], v[14:15], 0.5 op_sel_hi:[1,0]
	s_nop 0
	v_pk_add_f32 v[4:5], v[26:27], 1.0 op_sel_hi:[1,0]
	s_nop 0
	v_pk_mul_f32 v[4:5], v[12:13], v[4:5]
	s_nop 0
	v_pk_mul_f32 v[0:1], v[0:1], v[4:5]
	v_pk_add_f32 v[4:5], v[30:31], 1.0 op_sel_hi:[1,0]
	s_nop 0
	v_pk_mul_f32 v[4:5], v[14:15], v[4:5]
	s_nop 0
	v_pk_mul_f32 v[2:3], v[2:3], v[4:5]
	global_store_dwordx4 v18, v[0:3], s[0:1] offset:16
	s_endpgm
	.section	.rodata,"a",@progbits
	.p2align	6, 0x0
	.amdhsa_kernel _Z12geglu_kernelIffLi160ELi2560ELi8ELi1EEvPT_PKS0_
		.amdhsa_group_segment_fixed_size 0
		.amdhsa_private_segment_fixed_size 0
		.amdhsa_kernarg_size 16
		.amdhsa_user_sgpr_count 2
		.amdhsa_user_sgpr_dispatch_ptr 0
		.amdhsa_user_sgpr_queue_ptr 0
		.amdhsa_user_sgpr_kernarg_segment_ptr 1
		.amdhsa_user_sgpr_dispatch_id 0
		.amdhsa_user_sgpr_kernarg_preload_length 0
		.amdhsa_user_sgpr_kernarg_preload_offset 0
		.amdhsa_user_sgpr_private_segment_size 0
		.amdhsa_uses_dynamic_stack 0
		.amdhsa_enable_private_segment 0
		.amdhsa_system_sgpr_workgroup_id_x 1
		.amdhsa_system_sgpr_workgroup_id_y 0
		.amdhsa_system_sgpr_workgroup_id_z 0
		.amdhsa_system_sgpr_workgroup_info 0
		.amdhsa_system_vgpr_workitem_id 0
		.amdhsa_next_free_vgpr 36
		.amdhsa_next_free_sgpr 9
		.amdhsa_accum_offset 36
		.amdhsa_reserve_vcc 1
		.amdhsa_float_round_mode_32 0
		.amdhsa_float_round_mode_16_64 0
		.amdhsa_float_denorm_mode_32 3
		.amdhsa_float_denorm_mode_16_64 3
		.amdhsa_dx10_clamp 1
		.amdhsa_ieee_mode 1
		.amdhsa_fp16_overflow 0
		.amdhsa_tg_split 0
		.amdhsa_exception_fp_ieee_invalid_op 0
		.amdhsa_exception_fp_denorm_src 0
		.amdhsa_exception_fp_ieee_div_zero 0
		.amdhsa_exception_fp_ieee_overflow 0
		.amdhsa_exception_fp_ieee_underflow 0
		.amdhsa_exception_fp_ieee_inexact 0
		.amdhsa_exception_int_div_zero 0
	.end_amdhsa_kernel
	.section	.text._Z12geglu_kernelIffLi160ELi2560ELi8ELi1EEvPT_PKS0_,"axG",@progbits,_Z12geglu_kernelIffLi160ELi2560ELi8ELi1EEvPT_PKS0_,comdat
.Lfunc_end1:
	.size	_Z12geglu_kernelIffLi160ELi2560ELi8ELi1EEvPT_PKS0_, .Lfunc_end1-_Z12geglu_kernelIffLi160ELi2560ELi8ELi1EEvPT_PKS0_
                                        ; -- End function
	.set _Z12geglu_kernelIffLi160ELi2560ELi8ELi1EEvPT_PKS0_.num_vgpr, 36
	.set _Z12geglu_kernelIffLi160ELi2560ELi8ELi1EEvPT_PKS0_.num_agpr, 0
	.set _Z12geglu_kernelIffLi160ELi2560ELi8ELi1EEvPT_PKS0_.numbered_sgpr, 9
	.set _Z12geglu_kernelIffLi160ELi2560ELi8ELi1EEvPT_PKS0_.num_named_barrier, 0
	.set _Z12geglu_kernelIffLi160ELi2560ELi8ELi1EEvPT_PKS0_.private_seg_size, 0
	.set _Z12geglu_kernelIffLi160ELi2560ELi8ELi1EEvPT_PKS0_.uses_vcc, 1
	.set _Z12geglu_kernelIffLi160ELi2560ELi8ELi1EEvPT_PKS0_.uses_flat_scratch, 0
	.set _Z12geglu_kernelIffLi160ELi2560ELi8ELi1EEvPT_PKS0_.has_dyn_sized_stack, 0
	.set _Z12geglu_kernelIffLi160ELi2560ELi8ELi1EEvPT_PKS0_.has_recursion, 0
	.set _Z12geglu_kernelIffLi160ELi2560ELi8ELi1EEvPT_PKS0_.has_indirect_call, 0
	.section	.AMDGPU.csdata,"",@progbits
; Kernel info:
; codeLenInByte = 2916
; TotalNumSgprs: 15
; NumVgprs: 36
; NumAgprs: 0
; TotalNumVgprs: 36
; ScratchSize: 0
; MemoryBound: 0
; FloatMode: 240
; IeeeMode: 1
; LDSByteSize: 0 bytes/workgroup (compile time only)
; SGPRBlocks: 1
; VGPRBlocks: 4
; NumSGPRsForWavesPerEU: 15
; NumVGPRsForWavesPerEU: 36
; AccumOffset: 36
; Occupancy: 8
; WaveLimiterHint : 0
; COMPUTE_PGM_RSRC2:SCRATCH_EN: 0
; COMPUTE_PGM_RSRC2:USER_SGPR: 2
; COMPUTE_PGM_RSRC2:TRAP_HANDLER: 0
; COMPUTE_PGM_RSRC2:TGID_X_EN: 1
; COMPUTE_PGM_RSRC2:TGID_Y_EN: 0
; COMPUTE_PGM_RSRC2:TGID_Z_EN: 0
; COMPUTE_PGM_RSRC2:TIDIG_COMP_CNT: 0
; COMPUTE_PGM_RSRC3_GFX90A:ACCUM_OFFSET: 8
; COMPUTE_PGM_RSRC3_GFX90A:TG_SPLIT: 0
	.section	.text._Z12geglu_kernelIffLi160ELi5120ELi8ELi1EEvPT_PKS0_,"axG",@progbits,_Z12geglu_kernelIffLi160ELi5120ELi8ELi1EEvPT_PKS0_,comdat
	.protected	_Z12geglu_kernelIffLi160ELi5120ELi8ELi1EEvPT_PKS0_ ; -- Begin function _Z12geglu_kernelIffLi160ELi5120ELi8ELi1EEvPT_PKS0_
	.globl	_Z12geglu_kernelIffLi160ELi5120ELi8ELi1EEvPT_PKS0_
	.p2align	8
	.type	_Z12geglu_kernelIffLi160ELi5120ELi8ELi1EEvPT_PKS0_,@function
_Z12geglu_kernelIffLi160ELi5120ELi8ELi1EEvPT_PKS0_: ; @_Z12geglu_kernelIffLi160ELi5120ELi8ELi1EEvPT_PKS0_
; %bb.0:
	s_load_dwordx4 s[4:7], s[0:1], 0x0
	s_and_b32 s0, s2, 3
	s_mulk_i32 s0, 0xa0
	s_lshr_b32 s3, s2, 1
	v_add_u32_e32 v18, s0, v0
	s_and_b32 s0, s3, 0x7ffffffe
	s_mul_hi_u32 s1, s0, 0x5000
	s_mulk_i32 s0, 0x5000
	s_waitcnt lgkmcnt(0)
	s_add_u32 s0, s6, s0
	s_addc_u32 s1, s7, s1
	s_or_b32 s3, s3, 1
	s_mul_hi_u32 s8, s3, 0x5000
	s_mulk_i32 s3, 0x5000
	s_add_u32 s6, s6, s3
	v_lshlrev_b32_e32 v16, 5, v18
	s_addc_u32 s7, s7, s8
	global_load_dwordx4 v[12:15], v16, s[6:7] offset:16
	global_load_dwordx4 v[8:11], v16, s[6:7]
	global_load_dwordx4 v[0:3], v16, s[0:1] offset:16
	global_load_dwordx4 v[4:7], v16, s[0:1]
                                        ; implicit-def: $vgpr17
	s_waitcnt vmcnt(2)
	v_mul_f32_e32 v16, 0x3f3504f3, v8
	v_cmp_nlt_f32_e64 s[0:1], |v16|, 1.0
	s_and_saveexec_b64 s[6:7], s[0:1]
	s_xor_b64 s[0:1], exec, s[6:7]
	s_cbranch_execz .LBB2_2
; %bb.1:
	s_mov_b32 s3, 0x378e98ab
	v_mov_b32_e32 v17, 0xb9c68948
	v_fma_f32 v17, |v16|, s3, v17
	s_mov_b32 s3, 0x3b7cd369
	v_fma_f32 v17, |v16|, v17, s3
	s_mov_b32 s3, 0xbcc618b2
	;; [unrolled: 2-line block ×5, first 2 shown]
	v_fma_f32 v17, |v16|, v17, s3
	v_fma_f32 v17, |v16|, v17, |v16|
	s_mov_b32 s3, 0xbfb8aa3b
	v_mul_f32_e32 v19, 0xbfb8aa3b, v17
	v_fma_f32 v20, v17, s3, -v19
	v_rndne_f32_e32 v21, v19
	v_fmamk_f32 v20, v17, 0xb2a5705f, v20
	v_sub_f32_e32 v19, v19, v21
	v_add_f32_e32 v19, v19, v20
	v_exp_f32_e32 v19, v19
	v_cvt_i32_f32_e32 v20, v21
	s_mov_b32 s3, 0x42ce8ed0
	v_cmp_nlt_f32_e32 vcc, s3, v17
	s_mov_b32 s3, 0xc2b17218
	v_ldexp_f32 v19, v19, v20
	v_cndmask_b32_e32 v19, 0, v19, vcc
	v_mov_b32_e32 v20, 0x7f800000
	v_cmp_ngt_f32_e32 vcc, s3, v17
	s_nop 1
	v_cndmask_b32_e32 v17, v20, v19, vcc
	v_sub_f32_e32 v17, 1.0, v17
.LBB2_2:
	s_andn2_saveexec_b64 s[0:1], s[0:1]
; %bb.3:
	v_mul_f32_e32 v17, v16, v16
	v_mov_b32_e32 v19, 0x3ba10414
	v_fmac_f32_e32 v19, 0xba1345e1, v17
	v_fmaak_f32 v19, v17, v19, 0xbcdac9b8
	v_fmaak_f32 v19, v17, v19, 0x3de703be
	;; [unrolled: 1-line block ×4, first 2 shown]
	v_fma_f32 v17, |v16|, v17, |v16|
; %bb.4:
	s_or_b64 exec, exec, s[0:1]
	v_mul_f32_e32 v19, 0x3f3504f3, v9
	v_cmp_nlt_f32_e64 s[0:1], |v19|, 1.0
                                        ; implicit-def: $vgpr20
	s_and_saveexec_b64 s[6:7], s[0:1]
	s_xor_b64 s[0:1], exec, s[6:7]
	s_cbranch_execz .LBB2_6
; %bb.5:
	s_mov_b32 s3, 0x378e98ab
	v_mov_b32_e32 v20, 0xb9c68948
	v_fma_f32 v20, |v19|, s3, v20
	s_mov_b32 s3, 0x3b7cd369
	v_fma_f32 v20, |v19|, v20, s3
	s_mov_b32 s3, 0xbcc618b2
	;; [unrolled: 2-line block ×5, first 2 shown]
	v_fma_f32 v20, |v19|, v20, s3
	v_fma_f32 v20, |v19|, v20, |v19|
	s_mov_b32 s3, 0xbfb8aa3b
	v_mul_f32_e32 v21, 0xbfb8aa3b, v20
	v_fma_f32 v22, v20, s3, -v21
	v_rndne_f32_e32 v23, v21
	v_fmamk_f32 v22, v20, 0xb2a5705f, v22
	v_sub_f32_e32 v21, v21, v23
	v_add_f32_e32 v21, v21, v22
	v_exp_f32_e32 v21, v21
	v_cvt_i32_f32_e32 v22, v23
	s_mov_b32 s3, 0x42ce8ed0
	v_cmp_nlt_f32_e32 vcc, s3, v20
	s_mov_b32 s3, 0xc2b17218
	v_ldexp_f32 v21, v21, v22
	v_cndmask_b32_e32 v21, 0, v21, vcc
	v_mov_b32_e32 v22, 0x7f800000
	v_cmp_ngt_f32_e32 vcc, s3, v20
	s_nop 1
	v_cndmask_b32_e32 v20, v22, v21, vcc
	v_sub_f32_e32 v20, 1.0, v20
.LBB2_6:
	s_andn2_saveexec_b64 s[0:1], s[0:1]
; %bb.7:
	v_mul_f32_e32 v20, v19, v19
	v_mov_b32_e32 v21, 0x3ba10414
	v_fmac_f32_e32 v21, 0xba1345e1, v20
	v_fmaak_f32 v21, v20, v21, 0xbcdac9b8
	v_fmaak_f32 v21, v20, v21, 0x3de703be
	;; [unrolled: 1-line block ×4, first 2 shown]
	v_fma_f32 v20, |v19|, v20, |v19|
; %bb.8:
	s_or_b64 exec, exec, s[0:1]
	v_mul_f32_e32 v21, 0x3f3504f3, v10
	v_cmp_nlt_f32_e64 s[0:1], |v21|, 1.0
                                        ; implicit-def: $vgpr22
	s_and_saveexec_b64 s[6:7], s[0:1]
	s_xor_b64 s[0:1], exec, s[6:7]
	s_cbranch_execz .LBB2_10
; %bb.9:
	s_mov_b32 s3, 0x378e98ab
	v_mov_b32_e32 v22, 0xb9c68948
	v_fma_f32 v22, |v21|, s3, v22
	s_mov_b32 s3, 0x3b7cd369
	v_fma_f32 v22, |v21|, v22, s3
	s_mov_b32 s3, 0xbcc618b2
	;; [unrolled: 2-line block ×5, first 2 shown]
	v_fma_f32 v22, |v21|, v22, s3
	v_fma_f32 v22, |v21|, v22, |v21|
	s_mov_b32 s3, 0xbfb8aa3b
	v_mul_f32_e32 v23, 0xbfb8aa3b, v22
	v_fma_f32 v24, v22, s3, -v23
	v_rndne_f32_e32 v25, v23
	v_fmamk_f32 v24, v22, 0xb2a5705f, v24
	v_sub_f32_e32 v23, v23, v25
	v_add_f32_e32 v23, v23, v24
	v_exp_f32_e32 v23, v23
	v_cvt_i32_f32_e32 v24, v25
	s_mov_b32 s3, 0x42ce8ed0
	v_cmp_nlt_f32_e32 vcc, s3, v22
	s_mov_b32 s3, 0xc2b17218
	v_ldexp_f32 v23, v23, v24
	v_cndmask_b32_e32 v23, 0, v23, vcc
	v_mov_b32_e32 v24, 0x7f800000
	v_cmp_ngt_f32_e32 vcc, s3, v22
	s_nop 1
	v_cndmask_b32_e32 v22, v24, v23, vcc
	v_sub_f32_e32 v22, 1.0, v22
.LBB2_10:
	s_andn2_saveexec_b64 s[0:1], s[0:1]
; %bb.11:
	v_mul_f32_e32 v22, v21, v21
	v_mov_b32_e32 v23, 0x3ba10414
	v_fmac_f32_e32 v23, 0xba1345e1, v22
	v_fmaak_f32 v23, v22, v23, 0xbcdac9b8
	v_fmaak_f32 v23, v22, v23, 0x3de703be
	;; [unrolled: 1-line block ×4, first 2 shown]
	v_fma_f32 v22, |v21|, v22, |v21|
; %bb.12:
	s_or_b64 exec, exec, s[0:1]
	v_mul_f32_e32 v23, 0x3f3504f3, v11
	v_cmp_nlt_f32_e64 s[0:1], |v23|, 1.0
                                        ; implicit-def: $vgpr24
	s_and_saveexec_b64 s[6:7], s[0:1]
	s_xor_b64 s[0:1], exec, s[6:7]
	s_cbranch_execz .LBB2_14
; %bb.13:
	s_mov_b32 s3, 0x378e98ab
	v_mov_b32_e32 v24, 0xb9c68948
	v_fma_f32 v24, |v23|, s3, v24
	s_mov_b32 s3, 0x3b7cd369
	v_fma_f32 v24, |v23|, v24, s3
	s_mov_b32 s3, 0xbcc618b2
	;; [unrolled: 2-line block ×5, first 2 shown]
	v_fma_f32 v24, |v23|, v24, s3
	v_fma_f32 v24, |v23|, v24, |v23|
	s_mov_b32 s3, 0xbfb8aa3b
	v_mul_f32_e32 v25, 0xbfb8aa3b, v24
	v_fma_f32 v26, v24, s3, -v25
	v_rndne_f32_e32 v27, v25
	v_fmamk_f32 v26, v24, 0xb2a5705f, v26
	v_sub_f32_e32 v25, v25, v27
	v_add_f32_e32 v25, v25, v26
	v_exp_f32_e32 v25, v25
	v_cvt_i32_f32_e32 v26, v27
	s_mov_b32 s3, 0x42ce8ed0
	v_cmp_nlt_f32_e32 vcc, s3, v24
	s_mov_b32 s3, 0xc2b17218
	v_ldexp_f32 v25, v25, v26
	v_cndmask_b32_e32 v25, 0, v25, vcc
	v_mov_b32_e32 v26, 0x7f800000
	v_cmp_ngt_f32_e32 vcc, s3, v24
	s_nop 1
	v_cndmask_b32_e32 v24, v26, v25, vcc
	v_sub_f32_e32 v24, 1.0, v24
.LBB2_14:
	s_andn2_saveexec_b64 s[0:1], s[0:1]
; %bb.15:
	v_mul_f32_e32 v24, v23, v23
	v_mov_b32_e32 v25, 0x3ba10414
	v_fmac_f32_e32 v25, 0xba1345e1, v24
	v_fmaak_f32 v25, v24, v25, 0xbcdac9b8
	v_fmaak_f32 v25, v24, v25, 0x3de703be
	v_fmaak_f32 v25, v24, v25, 0xbec09330
	v_fmaak_f32 v24, v24, v25, 0x3e0375d0
	v_fma_f32 v24, |v23|, v24, |v23|
; %bb.16:
	s_or_b64 exec, exec, s[0:1]
	v_mul_f32_e32 v25, 0x3f3504f3, v12
	v_cmp_nlt_f32_e64 s[0:1], |v25|, 1.0
                                        ; implicit-def: $vgpr26
	s_and_saveexec_b64 s[6:7], s[0:1]
	s_xor_b64 s[0:1], exec, s[6:7]
	s_cbranch_execz .LBB2_18
; %bb.17:
	s_mov_b32 s3, 0x378e98ab
	v_mov_b32_e32 v26, 0xb9c68948
	v_fma_f32 v26, |v25|, s3, v26
	s_mov_b32 s3, 0x3b7cd369
	v_fma_f32 v26, |v25|, v26, s3
	s_mov_b32 s3, 0xbcc618b2
	;; [unrolled: 2-line block ×5, first 2 shown]
	v_fma_f32 v26, |v25|, v26, s3
	v_fma_f32 v26, |v25|, v26, |v25|
	s_mov_b32 s3, 0xbfb8aa3b
	v_mul_f32_e32 v27, 0xbfb8aa3b, v26
	v_fma_f32 v28, v26, s3, -v27
	v_rndne_f32_e32 v29, v27
	v_fmamk_f32 v28, v26, 0xb2a5705f, v28
	v_sub_f32_e32 v27, v27, v29
	v_add_f32_e32 v27, v27, v28
	v_exp_f32_e32 v27, v27
	v_cvt_i32_f32_e32 v28, v29
	s_mov_b32 s3, 0x42ce8ed0
	v_cmp_nlt_f32_e32 vcc, s3, v26
	s_mov_b32 s3, 0xc2b17218
	v_ldexp_f32 v27, v27, v28
	v_cndmask_b32_e32 v27, 0, v27, vcc
	v_mov_b32_e32 v28, 0x7f800000
	v_cmp_ngt_f32_e32 vcc, s3, v26
	s_nop 1
	v_cndmask_b32_e32 v26, v28, v27, vcc
	v_sub_f32_e32 v26, 1.0, v26
.LBB2_18:
	s_andn2_saveexec_b64 s[0:1], s[0:1]
; %bb.19:
	v_mul_f32_e32 v26, v25, v25
	v_mov_b32_e32 v27, 0x3ba10414
	v_fmac_f32_e32 v27, 0xba1345e1, v26
	v_fmaak_f32 v27, v26, v27, 0xbcdac9b8
	v_fmaak_f32 v27, v26, v27, 0x3de703be
	v_fmaak_f32 v27, v26, v27, 0xbec09330
	v_fmaak_f32 v26, v26, v27, 0x3e0375d0
	v_fma_f32 v26, |v25|, v26, |v25|
; %bb.20:
	s_or_b64 exec, exec, s[0:1]
	v_mul_f32_e32 v27, 0x3f3504f3, v13
	v_cmp_nlt_f32_e64 s[0:1], |v27|, 1.0
                                        ; implicit-def: $vgpr28
	s_and_saveexec_b64 s[6:7], s[0:1]
	s_xor_b64 s[0:1], exec, s[6:7]
	s_cbranch_execz .LBB2_22
; %bb.21:
	s_mov_b32 s3, 0x378e98ab
	v_mov_b32_e32 v28, 0xb9c68948
	v_fma_f32 v28, |v27|, s3, v28
	s_mov_b32 s3, 0x3b7cd369
	v_fma_f32 v28, |v27|, v28, s3
	s_mov_b32 s3, 0xbcc618b2
	;; [unrolled: 2-line block ×5, first 2 shown]
	v_fma_f32 v28, |v27|, v28, s3
	v_fma_f32 v28, |v27|, v28, |v27|
	s_mov_b32 s3, 0xbfb8aa3b
	v_mul_f32_e32 v29, 0xbfb8aa3b, v28
	v_fma_f32 v30, v28, s3, -v29
	v_rndne_f32_e32 v31, v29
	v_fmamk_f32 v30, v28, 0xb2a5705f, v30
	v_sub_f32_e32 v29, v29, v31
	v_add_f32_e32 v29, v29, v30
	v_exp_f32_e32 v29, v29
	v_cvt_i32_f32_e32 v30, v31
	s_mov_b32 s3, 0x42ce8ed0
	v_cmp_nlt_f32_e32 vcc, s3, v28
	s_mov_b32 s3, 0xc2b17218
	v_ldexp_f32 v29, v29, v30
	v_cndmask_b32_e32 v29, 0, v29, vcc
	v_mov_b32_e32 v30, 0x7f800000
	v_cmp_ngt_f32_e32 vcc, s3, v28
	s_nop 1
	v_cndmask_b32_e32 v28, v30, v29, vcc
	v_sub_f32_e32 v28, 1.0, v28
.LBB2_22:
	s_andn2_saveexec_b64 s[0:1], s[0:1]
; %bb.23:
	v_mul_f32_e32 v28, v27, v27
	v_mov_b32_e32 v29, 0x3ba10414
	v_fmac_f32_e32 v29, 0xba1345e1, v28
	v_fmaak_f32 v29, v28, v29, 0xbcdac9b8
	v_fmaak_f32 v29, v28, v29, 0x3de703be
	;; [unrolled: 1-line block ×4, first 2 shown]
	v_fma_f32 v28, |v27|, v28, |v27|
; %bb.24:
	s_or_b64 exec, exec, s[0:1]
	v_mul_f32_e32 v29, 0x3f3504f3, v14
	v_cmp_nlt_f32_e64 s[0:1], |v29|, 1.0
                                        ; implicit-def: $vgpr30
	s_and_saveexec_b64 s[6:7], s[0:1]
	s_xor_b64 s[0:1], exec, s[6:7]
	s_cbranch_execz .LBB2_26
; %bb.25:
	s_mov_b32 s3, 0x378e98ab
	v_mov_b32_e32 v30, 0xb9c68948
	v_fma_f32 v30, |v29|, s3, v30
	s_mov_b32 s3, 0x3b7cd369
	v_fma_f32 v30, |v29|, v30, s3
	s_mov_b32 s3, 0xbcc618b2
	;; [unrolled: 2-line block ×5, first 2 shown]
	v_fma_f32 v30, |v29|, v30, s3
	v_fma_f32 v30, |v29|, v30, |v29|
	s_mov_b32 s3, 0xbfb8aa3b
	v_mul_f32_e32 v31, 0xbfb8aa3b, v30
	v_fma_f32 v32, v30, s3, -v31
	v_rndne_f32_e32 v33, v31
	v_fmamk_f32 v32, v30, 0xb2a5705f, v32
	v_sub_f32_e32 v31, v31, v33
	v_add_f32_e32 v31, v31, v32
	v_exp_f32_e32 v31, v31
	v_cvt_i32_f32_e32 v32, v33
	s_mov_b32 s3, 0x42ce8ed0
	v_cmp_nlt_f32_e32 vcc, s3, v30
	s_mov_b32 s3, 0xc2b17218
	v_ldexp_f32 v31, v31, v32
	v_cndmask_b32_e32 v31, 0, v31, vcc
	v_mov_b32_e32 v32, 0x7f800000
	v_cmp_ngt_f32_e32 vcc, s3, v30
	s_nop 1
	v_cndmask_b32_e32 v30, v32, v31, vcc
	v_sub_f32_e32 v30, 1.0, v30
.LBB2_26:
	s_andn2_saveexec_b64 s[0:1], s[0:1]
; %bb.27:
	v_mul_f32_e32 v30, v29, v29
	v_mov_b32_e32 v31, 0x3ba10414
	v_fmac_f32_e32 v31, 0xba1345e1, v30
	v_fmaak_f32 v31, v30, v31, 0xbcdac9b8
	v_fmaak_f32 v31, v30, v31, 0x3de703be
	;; [unrolled: 1-line block ×4, first 2 shown]
	v_fma_f32 v30, |v29|, v30, |v29|
; %bb.28:
	s_or_b64 exec, exec, s[0:1]
	v_mul_f32_e32 v31, 0x3f3504f3, v15
	v_lshlrev_b32_e32 v18, 3, v18
	v_cmp_nlt_f32_e64 s[0:1], |v31|, 1.0
                                        ; implicit-def: $vgpr32
	s_and_saveexec_b64 s[6:7], s[0:1]
	s_xor_b64 s[0:1], exec, s[6:7]
	s_cbranch_execz .LBB2_30
; %bb.29:
	s_mov_b32 s3, 0x378e98ab
	v_mov_b32_e32 v32, 0xb9c68948
	v_fma_f32 v32, |v31|, s3, v32
	s_mov_b32 s3, 0x3b7cd369
	v_fma_f32 v32, |v31|, v32, s3
	s_mov_b32 s3, 0xbcc618b2
	;; [unrolled: 2-line block ×5, first 2 shown]
	v_fma_f32 v32, |v31|, v32, s3
	v_fma_f32 v32, |v31|, v32, |v31|
	s_mov_b32 s3, 0xbfb8aa3b
	v_mul_f32_e32 v33, 0xbfb8aa3b, v32
	v_fma_f32 v34, v32, s3, -v33
	v_rndne_f32_e32 v35, v33
	v_fmamk_f32 v34, v32, 0xb2a5705f, v34
	v_sub_f32_e32 v33, v33, v35
	v_add_f32_e32 v33, v33, v34
	v_exp_f32_e32 v33, v33
	v_cvt_i32_f32_e32 v34, v35
	s_mov_b32 s3, 0x42ce8ed0
	v_cmp_nlt_f32_e32 vcc, s3, v32
	s_mov_b32 s3, 0xc2b17218
	v_ldexp_f32 v33, v33, v34
	v_cndmask_b32_e32 v33, 0, v33, vcc
	v_mov_b32_e32 v34, 0x7f800000
	v_cmp_ngt_f32_e32 vcc, s3, v32
	s_nop 1
	v_cndmask_b32_e32 v32, v34, v33, vcc
	v_sub_f32_e32 v32, 1.0, v32
.LBB2_30:
	s_andn2_saveexec_b64 s[0:1], s[0:1]
; %bb.31:
	v_mul_f32_e32 v32, v31, v31
	v_mov_b32_e32 v33, 0x3ba10414
	v_fmac_f32_e32 v33, 0xba1345e1, v32
	v_fmaak_f32 v33, v32, v33, 0xbcdac9b8
	v_fmaak_f32 v33, v32, v33, 0x3de703be
	;; [unrolled: 1-line block ×4, first 2 shown]
	v_fma_f32 v32, |v31|, v32, |v31|
; %bb.32:
	s_or_b64 exec, exec, s[0:1]
	s_brev_b32 s0, -2
	v_bfi_b32 v22, s0, v22, v21
	v_bfi_b32 v21, s0, v20, v19
	;; [unrolled: 1-line block ×3, first 2 shown]
	v_pk_mul_f32 v[8:9], v[8:9], 0.5 op_sel_hi:[1,0]
	v_pk_add_f32 v[16:17], v[20:21], 1.0 op_sel_hi:[1,0]
	v_bfi_b32 v31, s0, v32, v31
	v_bfi_b32 v30, s0, v30, v29
	;; [unrolled: 1-line block ×5, first 2 shown]
	s_lshr_b32 s0, s2, 2
	v_pk_mul_f32 v[8:9], v[8:9], v[16:17]
	v_pk_mul_f32 v[10:11], v[10:11], 0.5 op_sel_hi:[1,0]
	s_mul_hi_u32 s1, s0, 0x5000
	s_mulk_i32 s0, 0x5000
	s_waitcnt vmcnt(0)
	v_pk_mul_f32 v[4:5], v[4:5], v[8:9]
	v_pk_add_f32 v[8:9], v[22:23], 1.0 op_sel_hi:[1,0]
	s_add_u32 s0, s4, s0
	v_pk_mul_f32 v[8:9], v[10:11], v[8:9]
	s_addc_u32 s1, s5, s1
	v_lshlrev_b32_e32 v18, 2, v18
	v_pk_mul_f32 v[6:7], v[6:7], v[8:9]
	v_pk_mul_f32 v[12:13], v[12:13], 0.5 op_sel_hi:[1,0]
	global_store_dwordx4 v18, v[4:7], s[0:1]
	v_pk_mul_f32 v[14:15], v[14:15], 0.5 op_sel_hi:[1,0]
	s_nop 0
	v_pk_add_f32 v[4:5], v[26:27], 1.0 op_sel_hi:[1,0]
	s_nop 0
	v_pk_mul_f32 v[4:5], v[12:13], v[4:5]
	s_nop 0
	v_pk_mul_f32 v[0:1], v[0:1], v[4:5]
	v_pk_add_f32 v[4:5], v[30:31], 1.0 op_sel_hi:[1,0]
	s_nop 0
	v_pk_mul_f32 v[4:5], v[14:15], v[4:5]
	s_nop 0
	v_pk_mul_f32 v[2:3], v[2:3], v[4:5]
	global_store_dwordx4 v18, v[0:3], s[0:1] offset:16
	s_endpgm
	.section	.rodata,"a",@progbits
	.p2align	6, 0x0
	.amdhsa_kernel _Z12geglu_kernelIffLi160ELi5120ELi8ELi1EEvPT_PKS0_
		.amdhsa_group_segment_fixed_size 0
		.amdhsa_private_segment_fixed_size 0
		.amdhsa_kernarg_size 16
		.amdhsa_user_sgpr_count 2
		.amdhsa_user_sgpr_dispatch_ptr 0
		.amdhsa_user_sgpr_queue_ptr 0
		.amdhsa_user_sgpr_kernarg_segment_ptr 1
		.amdhsa_user_sgpr_dispatch_id 0
		.amdhsa_user_sgpr_kernarg_preload_length 0
		.amdhsa_user_sgpr_kernarg_preload_offset 0
		.amdhsa_user_sgpr_private_segment_size 0
		.amdhsa_uses_dynamic_stack 0
		.amdhsa_enable_private_segment 0
		.amdhsa_system_sgpr_workgroup_id_x 1
		.amdhsa_system_sgpr_workgroup_id_y 0
		.amdhsa_system_sgpr_workgroup_id_z 0
		.amdhsa_system_sgpr_workgroup_info 0
		.amdhsa_system_vgpr_workitem_id 0
		.amdhsa_next_free_vgpr 36
		.amdhsa_next_free_sgpr 9
		.amdhsa_accum_offset 36
		.amdhsa_reserve_vcc 1
		.amdhsa_float_round_mode_32 0
		.amdhsa_float_round_mode_16_64 0
		.amdhsa_float_denorm_mode_32 3
		.amdhsa_float_denorm_mode_16_64 3
		.amdhsa_dx10_clamp 1
		.amdhsa_ieee_mode 1
		.amdhsa_fp16_overflow 0
		.amdhsa_tg_split 0
		.amdhsa_exception_fp_ieee_invalid_op 0
		.amdhsa_exception_fp_denorm_src 0
		.amdhsa_exception_fp_ieee_div_zero 0
		.amdhsa_exception_fp_ieee_overflow 0
		.amdhsa_exception_fp_ieee_underflow 0
		.amdhsa_exception_fp_ieee_inexact 0
		.amdhsa_exception_int_div_zero 0
	.end_amdhsa_kernel
	.section	.text._Z12geglu_kernelIffLi160ELi5120ELi8ELi1EEvPT_PKS0_,"axG",@progbits,_Z12geglu_kernelIffLi160ELi5120ELi8ELi1EEvPT_PKS0_,comdat
.Lfunc_end2:
	.size	_Z12geglu_kernelIffLi160ELi5120ELi8ELi1EEvPT_PKS0_, .Lfunc_end2-_Z12geglu_kernelIffLi160ELi5120ELi8ELi1EEvPT_PKS0_
                                        ; -- End function
	.set _Z12geglu_kernelIffLi160ELi5120ELi8ELi1EEvPT_PKS0_.num_vgpr, 36
	.set _Z12geglu_kernelIffLi160ELi5120ELi8ELi1EEvPT_PKS0_.num_agpr, 0
	.set _Z12geglu_kernelIffLi160ELi5120ELi8ELi1EEvPT_PKS0_.numbered_sgpr, 9
	.set _Z12geglu_kernelIffLi160ELi5120ELi8ELi1EEvPT_PKS0_.num_named_barrier, 0
	.set _Z12geglu_kernelIffLi160ELi5120ELi8ELi1EEvPT_PKS0_.private_seg_size, 0
	.set _Z12geglu_kernelIffLi160ELi5120ELi8ELi1EEvPT_PKS0_.uses_vcc, 1
	.set _Z12geglu_kernelIffLi160ELi5120ELi8ELi1EEvPT_PKS0_.uses_flat_scratch, 0
	.set _Z12geglu_kernelIffLi160ELi5120ELi8ELi1EEvPT_PKS0_.has_dyn_sized_stack, 0
	.set _Z12geglu_kernelIffLi160ELi5120ELi8ELi1EEvPT_PKS0_.has_recursion, 0
	.set _Z12geglu_kernelIffLi160ELi5120ELi8ELi1EEvPT_PKS0_.has_indirect_call, 0
	.section	.AMDGPU.csdata,"",@progbits
; Kernel info:
; codeLenInByte = 2920
; TotalNumSgprs: 15
; NumVgprs: 36
; NumAgprs: 0
; TotalNumVgprs: 36
; ScratchSize: 0
; MemoryBound: 0
; FloatMode: 240
; IeeeMode: 1
; LDSByteSize: 0 bytes/workgroup (compile time only)
; SGPRBlocks: 1
; VGPRBlocks: 4
; NumSGPRsForWavesPerEU: 15
; NumVGPRsForWavesPerEU: 36
; AccumOffset: 36
; Occupancy: 8
; WaveLimiterHint : 0
; COMPUTE_PGM_RSRC2:SCRATCH_EN: 0
; COMPUTE_PGM_RSRC2:USER_SGPR: 2
; COMPUTE_PGM_RSRC2:TRAP_HANDLER: 0
; COMPUTE_PGM_RSRC2:TGID_X_EN: 1
; COMPUTE_PGM_RSRC2:TGID_Y_EN: 0
; COMPUTE_PGM_RSRC2:TGID_Z_EN: 0
; COMPUTE_PGM_RSRC2:TIDIG_COMP_CNT: 0
; COMPUTE_PGM_RSRC3_GFX90A:ACCUM_OFFSET: 8
; COMPUTE_PGM_RSRC3_GFX90A:TG_SPLIT: 0
	.section	.text._Z12geglu_kernelIffLi160ELi1280ELi8ELi2EEvPT_PKS0_,"axG",@progbits,_Z12geglu_kernelIffLi160ELi1280ELi8ELi2EEvPT_PKS0_,comdat
	.protected	_Z12geglu_kernelIffLi160ELi1280ELi8ELi2EEvPT_PKS0_ ; -- Begin function _Z12geglu_kernelIffLi160ELi1280ELi8ELi2EEvPT_PKS0_
	.globl	_Z12geglu_kernelIffLi160ELi1280ELi8ELi2EEvPT_PKS0_
	.p2align	8
	.type	_Z12geglu_kernelIffLi160ELi1280ELi8ELi2EEvPT_PKS0_,@function
_Z12geglu_kernelIffLi160ELi1280ELi8ELi2EEvPT_PKS0_: ; @_Z12geglu_kernelIffLi160ELi1280ELi8ELi2EEvPT_PKS0_
; %bb.0:
	s_load_dwordx4 s[4:7], s[0:1], 0x0
	v_mov_b32_e32 v3, 0
	v_lshlrev_b32_e32 v2, 5, v0
	s_lshl_b32 s3, s2, 2
	v_mov_b32_e32 v1, 0x1400
	s_waitcnt lgkmcnt(0)
	v_lshl_add_u64 v[2:3], s[6:7], 0, v[2:3]
	v_mad_i64_i32 v[4:5], s[0:1], s3, v1, v[2:3]
	s_or_b32 s0, s3, 1
	s_nop 0
	v_mad_i64_i32 v[10:11], s[0:1], s0, v1, v[2:3]
	s_or_b32 s0, s3, 2
	s_nop 0
	v_mad_i64_i32 v[34:35], s[0:1], s0, v1, v[2:3]
	s_or_b32 s0, s3, 3
	global_load_dwordx4 v[6:9], v[4:5], off offset:16
	global_load_dwordx4 v[14:17], v[4:5], off
	global_load_dwordx4 v[22:25], v[10:11], off offset:16
	global_load_dwordx4 v[18:21], v[10:11], off
	v_mad_i64_i32 v[36:37], s[0:1], s0, v1, v[2:3]
	global_load_dwordx4 v[2:5], v[34:35], off offset:16
	global_load_dwordx4 v[10:13], v[34:35], off
	global_load_dwordx4 v[30:33], v[36:37], off offset:16
	global_load_dwordx4 v[26:29], v[36:37], off
                                        ; implicit-def: $vgpr34
	s_waitcnt vmcnt(4)
	v_mul_f32_e32 v1, 0x3f3504f3, v18
	v_cmp_nlt_f32_e64 s[0:1], |v1|, 1.0
	s_and_saveexec_b64 s[6:7], s[0:1]
	s_xor_b64 s[0:1], exec, s[6:7]
	s_cbranch_execz .LBB3_2
; %bb.1:
	s_mov_b32 s3, 0x378e98ab
	v_mov_b32_e32 v34, 0xb9c68948
	v_fma_f32 v34, |v1|, s3, v34
	s_mov_b32 s3, 0x3b7cd369
	v_fma_f32 v34, |v1|, v34, s3
	s_mov_b32 s3, 0xbcc618b2
	;; [unrolled: 2-line block ×5, first 2 shown]
	v_fma_f32 v34, |v1|, v34, s3
	v_fma_f32 v34, |v1|, v34, |v1|
	s_mov_b32 s3, 0xbfb8aa3b
	v_mul_f32_e32 v35, 0xbfb8aa3b, v34
	v_fma_f32 v36, v34, s3, -v35
	v_rndne_f32_e32 v37, v35
	v_fmamk_f32 v36, v34, 0xb2a5705f, v36
	v_sub_f32_e32 v35, v35, v37
	v_add_f32_e32 v35, v35, v36
	v_exp_f32_e32 v35, v35
	v_cvt_i32_f32_e32 v36, v37
	s_mov_b32 s3, 0x42ce8ed0
	v_cmp_nlt_f32_e32 vcc, s3, v34
	s_mov_b32 s3, 0xc2b17218
	v_ldexp_f32 v35, v35, v36
	v_cndmask_b32_e32 v35, 0, v35, vcc
	v_mov_b32_e32 v36, 0x7f800000
	v_cmp_ngt_f32_e32 vcc, s3, v34
	s_nop 1
	v_cndmask_b32_e32 v34, v36, v35, vcc
	v_sub_f32_e32 v34, 1.0, v34
.LBB3_2:
	s_andn2_saveexec_b64 s[0:1], s[0:1]
; %bb.3:
	v_mul_f32_e32 v34, v1, v1
	v_mov_b32_e32 v35, 0x3ba10414
	v_fmac_f32_e32 v35, 0xba1345e1, v34
	v_fmaak_f32 v35, v34, v35, 0xbcdac9b8
	v_fmaak_f32 v35, v34, v35, 0x3de703be
	;; [unrolled: 1-line block ×4, first 2 shown]
	v_fma_f32 v34, |v1|, v34, |v1|
; %bb.4:
	s_or_b64 exec, exec, s[0:1]
	v_mul_f32_e32 v35, 0x3f3504f3, v19
	v_cmp_nlt_f32_e64 s[0:1], |v35|, 1.0
                                        ; implicit-def: $vgpr36
	s_and_saveexec_b64 s[6:7], s[0:1]
	s_xor_b64 s[0:1], exec, s[6:7]
	s_cbranch_execz .LBB3_6
; %bb.5:
	s_mov_b32 s3, 0x378e98ab
	v_mov_b32_e32 v36, 0xb9c68948
	v_fma_f32 v36, |v35|, s3, v36
	s_mov_b32 s3, 0x3b7cd369
	v_fma_f32 v36, |v35|, v36, s3
	s_mov_b32 s3, 0xbcc618b2
	;; [unrolled: 2-line block ×5, first 2 shown]
	v_fma_f32 v36, |v35|, v36, s3
	v_fma_f32 v36, |v35|, v36, |v35|
	s_mov_b32 s3, 0xbfb8aa3b
	v_mul_f32_e32 v37, 0xbfb8aa3b, v36
	v_fma_f32 v38, v36, s3, -v37
	v_rndne_f32_e32 v39, v37
	v_fmamk_f32 v38, v36, 0xb2a5705f, v38
	v_sub_f32_e32 v37, v37, v39
	v_add_f32_e32 v37, v37, v38
	v_exp_f32_e32 v37, v37
	v_cvt_i32_f32_e32 v38, v39
	s_mov_b32 s3, 0x42ce8ed0
	v_cmp_nlt_f32_e32 vcc, s3, v36
	s_mov_b32 s3, 0xc2b17218
	v_ldexp_f32 v37, v37, v38
	v_cndmask_b32_e32 v37, 0, v37, vcc
	v_mov_b32_e32 v38, 0x7f800000
	v_cmp_ngt_f32_e32 vcc, s3, v36
	s_nop 1
	v_cndmask_b32_e32 v36, v38, v37, vcc
	v_sub_f32_e32 v36, 1.0, v36
.LBB3_6:
	s_andn2_saveexec_b64 s[0:1], s[0:1]
; %bb.7:
	v_mul_f32_e32 v36, v35, v35
	v_mov_b32_e32 v37, 0x3ba10414
	v_fmac_f32_e32 v37, 0xba1345e1, v36
	v_fmaak_f32 v37, v36, v37, 0xbcdac9b8
	v_fmaak_f32 v37, v36, v37, 0x3de703be
	;; [unrolled: 1-line block ×4, first 2 shown]
	v_fma_f32 v36, |v35|, v36, |v35|
; %bb.8:
	s_or_b64 exec, exec, s[0:1]
	v_mul_f32_e32 v37, 0x3f3504f3, v20
	v_cmp_nlt_f32_e64 s[0:1], |v37|, 1.0
                                        ; implicit-def: $vgpr38
	s_and_saveexec_b64 s[6:7], s[0:1]
	s_xor_b64 s[0:1], exec, s[6:7]
	s_cbranch_execz .LBB3_10
; %bb.9:
	s_mov_b32 s3, 0x378e98ab
	v_mov_b32_e32 v38, 0xb9c68948
	v_fma_f32 v38, |v37|, s3, v38
	s_mov_b32 s3, 0x3b7cd369
	v_fma_f32 v38, |v37|, v38, s3
	s_mov_b32 s3, 0xbcc618b2
	;; [unrolled: 2-line block ×5, first 2 shown]
	v_fma_f32 v38, |v37|, v38, s3
	v_fma_f32 v38, |v37|, v38, |v37|
	s_mov_b32 s3, 0xbfb8aa3b
	v_mul_f32_e32 v39, 0xbfb8aa3b, v38
	v_fma_f32 v40, v38, s3, -v39
	v_rndne_f32_e32 v41, v39
	v_fmamk_f32 v40, v38, 0xb2a5705f, v40
	v_sub_f32_e32 v39, v39, v41
	v_add_f32_e32 v39, v39, v40
	v_exp_f32_e32 v39, v39
	v_cvt_i32_f32_e32 v40, v41
	s_mov_b32 s3, 0x42ce8ed0
	v_cmp_nlt_f32_e32 vcc, s3, v38
	s_mov_b32 s3, 0xc2b17218
	v_ldexp_f32 v39, v39, v40
	v_cndmask_b32_e32 v39, 0, v39, vcc
	v_mov_b32_e32 v40, 0x7f800000
	v_cmp_ngt_f32_e32 vcc, s3, v38
	s_nop 1
	v_cndmask_b32_e32 v38, v40, v39, vcc
	v_sub_f32_e32 v38, 1.0, v38
.LBB3_10:
	s_andn2_saveexec_b64 s[0:1], s[0:1]
; %bb.11:
	v_mul_f32_e32 v38, v37, v37
	v_mov_b32_e32 v39, 0x3ba10414
	v_fmac_f32_e32 v39, 0xba1345e1, v38
	v_fmaak_f32 v39, v38, v39, 0xbcdac9b8
	v_fmaak_f32 v39, v38, v39, 0x3de703be
	;; [unrolled: 1-line block ×4, first 2 shown]
	v_fma_f32 v38, |v37|, v38, |v37|
; %bb.12:
	s_or_b64 exec, exec, s[0:1]
	v_mul_f32_e32 v39, 0x3f3504f3, v21
	v_cmp_nlt_f32_e64 s[0:1], |v39|, 1.0
                                        ; implicit-def: $vgpr40
	s_and_saveexec_b64 s[6:7], s[0:1]
	s_xor_b64 s[0:1], exec, s[6:7]
	s_cbranch_execz .LBB3_14
; %bb.13:
	s_mov_b32 s3, 0x378e98ab
	v_mov_b32_e32 v40, 0xb9c68948
	v_fma_f32 v40, |v39|, s3, v40
	s_mov_b32 s3, 0x3b7cd369
	v_fma_f32 v40, |v39|, v40, s3
	s_mov_b32 s3, 0xbcc618b2
	;; [unrolled: 2-line block ×5, first 2 shown]
	v_fma_f32 v40, |v39|, v40, s3
	v_fma_f32 v40, |v39|, v40, |v39|
	s_mov_b32 s3, 0xbfb8aa3b
	v_mul_f32_e32 v41, 0xbfb8aa3b, v40
	v_fma_f32 v42, v40, s3, -v41
	v_rndne_f32_e32 v43, v41
	v_fmamk_f32 v42, v40, 0xb2a5705f, v42
	v_sub_f32_e32 v41, v41, v43
	v_add_f32_e32 v41, v41, v42
	v_exp_f32_e32 v41, v41
	v_cvt_i32_f32_e32 v42, v43
	s_mov_b32 s3, 0x42ce8ed0
	v_cmp_nlt_f32_e32 vcc, s3, v40
	s_mov_b32 s3, 0xc2b17218
	v_ldexp_f32 v41, v41, v42
	v_cndmask_b32_e32 v41, 0, v41, vcc
	v_mov_b32_e32 v42, 0x7f800000
	v_cmp_ngt_f32_e32 vcc, s3, v40
	s_nop 1
	v_cndmask_b32_e32 v40, v42, v41, vcc
	v_sub_f32_e32 v40, 1.0, v40
.LBB3_14:
	s_andn2_saveexec_b64 s[0:1], s[0:1]
; %bb.15:
	v_mul_f32_e32 v40, v39, v39
	v_mov_b32_e32 v41, 0x3ba10414
	v_fmac_f32_e32 v41, 0xba1345e1, v40
	v_fmaak_f32 v41, v40, v41, 0xbcdac9b8
	v_fmaak_f32 v41, v40, v41, 0x3de703be
	;; [unrolled: 1-line block ×4, first 2 shown]
	v_fma_f32 v40, |v39|, v40, |v39|
; %bb.16:
	s_or_b64 exec, exec, s[0:1]
	v_mul_f32_e32 v41, 0x3f3504f3, v22
	v_cmp_nlt_f32_e64 s[0:1], |v41|, 1.0
                                        ; implicit-def: $vgpr42
	s_and_saveexec_b64 s[6:7], s[0:1]
	s_xor_b64 s[0:1], exec, s[6:7]
	s_cbranch_execz .LBB3_18
; %bb.17:
	s_mov_b32 s3, 0x378e98ab
	v_mov_b32_e32 v42, 0xb9c68948
	v_fma_f32 v42, |v41|, s3, v42
	s_mov_b32 s3, 0x3b7cd369
	v_fma_f32 v42, |v41|, v42, s3
	s_mov_b32 s3, 0xbcc618b2
	;; [unrolled: 2-line block ×5, first 2 shown]
	v_fma_f32 v42, |v41|, v42, s3
	v_fma_f32 v42, |v41|, v42, |v41|
	s_mov_b32 s3, 0xbfb8aa3b
	v_mul_f32_e32 v43, 0xbfb8aa3b, v42
	v_fma_f32 v44, v42, s3, -v43
	v_rndne_f32_e32 v45, v43
	v_fmamk_f32 v44, v42, 0xb2a5705f, v44
	v_sub_f32_e32 v43, v43, v45
	v_add_f32_e32 v43, v43, v44
	v_exp_f32_e32 v43, v43
	v_cvt_i32_f32_e32 v44, v45
	s_mov_b32 s3, 0x42ce8ed0
	v_cmp_nlt_f32_e32 vcc, s3, v42
	s_mov_b32 s3, 0xc2b17218
	v_ldexp_f32 v43, v43, v44
	v_cndmask_b32_e32 v43, 0, v43, vcc
	v_mov_b32_e32 v44, 0x7f800000
	v_cmp_ngt_f32_e32 vcc, s3, v42
	s_nop 1
	v_cndmask_b32_e32 v42, v44, v43, vcc
	v_sub_f32_e32 v42, 1.0, v42
.LBB3_18:
	s_andn2_saveexec_b64 s[0:1], s[0:1]
; %bb.19:
	v_mul_f32_e32 v42, v41, v41
	v_mov_b32_e32 v43, 0x3ba10414
	v_fmac_f32_e32 v43, 0xba1345e1, v42
	v_fmaak_f32 v43, v42, v43, 0xbcdac9b8
	v_fmaak_f32 v43, v42, v43, 0x3de703be
	;; [unrolled: 1-line block ×4, first 2 shown]
	v_fma_f32 v42, |v41|, v42, |v41|
; %bb.20:
	s_or_b64 exec, exec, s[0:1]
	v_mul_f32_e32 v43, 0x3f3504f3, v23
	v_cmp_nlt_f32_e64 s[0:1], |v43|, 1.0
                                        ; implicit-def: $vgpr44
	s_and_saveexec_b64 s[6:7], s[0:1]
	s_xor_b64 s[0:1], exec, s[6:7]
	s_cbranch_execz .LBB3_22
; %bb.21:
	s_mov_b32 s3, 0x378e98ab
	v_mov_b32_e32 v44, 0xb9c68948
	v_fma_f32 v44, |v43|, s3, v44
	s_mov_b32 s3, 0x3b7cd369
	v_fma_f32 v44, |v43|, v44, s3
	s_mov_b32 s3, 0xbcc618b2
	v_fma_f32 v44, |v43|, v44, s3
	s_mov_b32 s3, 0x3dda74e4
	v_fma_f32 v44, |v43|, v44, s3
	s_mov_b32 s3, 0x3f228afd
	v_fma_f32 v44, |v43|, v44, s3
	s_mov_b32 s3, 0x3e03c728
	v_fma_f32 v44, |v43|, v44, s3
	v_fma_f32 v44, |v43|, v44, |v43|
	s_mov_b32 s3, 0xbfb8aa3b
	v_mul_f32_e32 v45, 0xbfb8aa3b, v44
	v_fma_f32 v46, v44, s3, -v45
	v_rndne_f32_e32 v47, v45
	v_fmamk_f32 v46, v44, 0xb2a5705f, v46
	v_sub_f32_e32 v45, v45, v47
	v_add_f32_e32 v45, v45, v46
	v_exp_f32_e32 v45, v45
	v_cvt_i32_f32_e32 v46, v47
	s_mov_b32 s3, 0x42ce8ed0
	v_cmp_nlt_f32_e32 vcc, s3, v44
	s_mov_b32 s3, 0xc2b17218
	v_ldexp_f32 v45, v45, v46
	v_cndmask_b32_e32 v45, 0, v45, vcc
	v_mov_b32_e32 v46, 0x7f800000
	v_cmp_ngt_f32_e32 vcc, s3, v44
	s_nop 1
	v_cndmask_b32_e32 v44, v46, v45, vcc
	v_sub_f32_e32 v44, 1.0, v44
.LBB3_22:
	s_andn2_saveexec_b64 s[0:1], s[0:1]
; %bb.23:
	v_mul_f32_e32 v44, v43, v43
	v_mov_b32_e32 v45, 0x3ba10414
	v_fmac_f32_e32 v45, 0xba1345e1, v44
	v_fmaak_f32 v45, v44, v45, 0xbcdac9b8
	v_fmaak_f32 v45, v44, v45, 0x3de703be
	;; [unrolled: 1-line block ×4, first 2 shown]
	v_fma_f32 v44, |v43|, v44, |v43|
; %bb.24:
	s_or_b64 exec, exec, s[0:1]
	v_mul_f32_e32 v45, 0x3f3504f3, v24
	v_cmp_nlt_f32_e64 s[0:1], |v45|, 1.0
                                        ; implicit-def: $vgpr46
	s_and_saveexec_b64 s[6:7], s[0:1]
	s_xor_b64 s[0:1], exec, s[6:7]
	s_cbranch_execz .LBB3_26
; %bb.25:
	s_mov_b32 s3, 0x378e98ab
	v_mov_b32_e32 v46, 0xb9c68948
	v_fma_f32 v46, |v45|, s3, v46
	s_mov_b32 s3, 0x3b7cd369
	v_fma_f32 v46, |v45|, v46, s3
	s_mov_b32 s3, 0xbcc618b2
	;; [unrolled: 2-line block ×5, first 2 shown]
	v_fma_f32 v46, |v45|, v46, s3
	v_fma_f32 v46, |v45|, v46, |v45|
	s_mov_b32 s3, 0xbfb8aa3b
	v_mul_f32_e32 v47, 0xbfb8aa3b, v46
	v_fma_f32 v48, v46, s3, -v47
	v_rndne_f32_e32 v49, v47
	v_fmamk_f32 v48, v46, 0xb2a5705f, v48
	v_sub_f32_e32 v47, v47, v49
	v_add_f32_e32 v47, v47, v48
	v_exp_f32_e32 v47, v47
	v_cvt_i32_f32_e32 v48, v49
	s_mov_b32 s3, 0x42ce8ed0
	v_cmp_nlt_f32_e32 vcc, s3, v46
	s_mov_b32 s3, 0xc2b17218
	v_ldexp_f32 v47, v47, v48
	v_cndmask_b32_e32 v47, 0, v47, vcc
	v_mov_b32_e32 v48, 0x7f800000
	v_cmp_ngt_f32_e32 vcc, s3, v46
	s_nop 1
	v_cndmask_b32_e32 v46, v48, v47, vcc
	v_sub_f32_e32 v46, 1.0, v46
.LBB3_26:
	s_andn2_saveexec_b64 s[0:1], s[0:1]
; %bb.27:
	v_mul_f32_e32 v46, v45, v45
	v_mov_b32_e32 v47, 0x3ba10414
	v_fmac_f32_e32 v47, 0xba1345e1, v46
	v_fmaak_f32 v47, v46, v47, 0xbcdac9b8
	v_fmaak_f32 v47, v46, v47, 0x3de703be
	;; [unrolled: 1-line block ×4, first 2 shown]
	v_fma_f32 v46, |v45|, v46, |v45|
; %bb.28:
	s_or_b64 exec, exec, s[0:1]
	v_mul_f32_e32 v47, 0x3f3504f3, v25
	v_cmp_nlt_f32_e64 s[0:1], |v47|, 1.0
                                        ; implicit-def: $vgpr48
	s_and_saveexec_b64 s[6:7], s[0:1]
	s_xor_b64 s[0:1], exec, s[6:7]
	s_cbranch_execz .LBB3_30
; %bb.29:
	s_mov_b32 s3, 0x378e98ab
	v_mov_b32_e32 v48, 0xb9c68948
	v_fma_f32 v48, |v47|, s3, v48
	s_mov_b32 s3, 0x3b7cd369
	v_fma_f32 v48, |v47|, v48, s3
	s_mov_b32 s3, 0xbcc618b2
	;; [unrolled: 2-line block ×5, first 2 shown]
	v_fma_f32 v48, |v47|, v48, s3
	v_fma_f32 v48, |v47|, v48, |v47|
	s_mov_b32 s3, 0xbfb8aa3b
	v_mul_f32_e32 v49, 0xbfb8aa3b, v48
	v_fma_f32 v50, v48, s3, -v49
	v_rndne_f32_e32 v51, v49
	v_fmamk_f32 v50, v48, 0xb2a5705f, v50
	v_sub_f32_e32 v49, v49, v51
	v_add_f32_e32 v49, v49, v50
	v_exp_f32_e32 v49, v49
	v_cvt_i32_f32_e32 v50, v51
	s_mov_b32 s3, 0x42ce8ed0
	v_cmp_nlt_f32_e32 vcc, s3, v48
	s_mov_b32 s3, 0xc2b17218
	v_ldexp_f32 v49, v49, v50
	v_cndmask_b32_e32 v49, 0, v49, vcc
	v_mov_b32_e32 v50, 0x7f800000
	v_cmp_ngt_f32_e32 vcc, s3, v48
	s_nop 1
	v_cndmask_b32_e32 v48, v50, v49, vcc
	v_sub_f32_e32 v48, 1.0, v48
.LBB3_30:
	s_andn2_saveexec_b64 s[0:1], s[0:1]
; %bb.31:
	v_mul_f32_e32 v48, v47, v47
	v_mov_b32_e32 v49, 0x3ba10414
	v_fmac_f32_e32 v49, 0xba1345e1, v48
	v_fmaak_f32 v49, v48, v49, 0xbcdac9b8
	v_fmaak_f32 v49, v48, v49, 0x3de703be
	;; [unrolled: 1-line block ×4, first 2 shown]
	v_fma_f32 v48, |v47|, v48, |v47|
; %bb.32:
	s_or_b64 exec, exec, s[0:1]
	s_waitcnt vmcnt(0)
	v_mul_f32_e32 v49, 0x3f3504f3, v26
	v_cmp_nlt_f32_e64 s[0:1], |v49|, 1.0
                                        ; implicit-def: $vgpr50
	s_and_saveexec_b64 s[6:7], s[0:1]
	s_xor_b64 s[0:1], exec, s[6:7]
	s_cbranch_execz .LBB3_34
; %bb.33:
	s_mov_b32 s3, 0x378e98ab
	v_mov_b32_e32 v50, 0xb9c68948
	v_fma_f32 v50, |v49|, s3, v50
	s_mov_b32 s3, 0x3b7cd369
	v_fma_f32 v50, |v49|, v50, s3
	s_mov_b32 s3, 0xbcc618b2
	;; [unrolled: 2-line block ×5, first 2 shown]
	v_fma_f32 v50, |v49|, v50, s3
	v_fma_f32 v50, |v49|, v50, |v49|
	s_mov_b32 s3, 0xbfb8aa3b
	v_mul_f32_e32 v51, 0xbfb8aa3b, v50
	v_fma_f32 v52, v50, s3, -v51
	v_rndne_f32_e32 v53, v51
	v_fmamk_f32 v52, v50, 0xb2a5705f, v52
	v_sub_f32_e32 v51, v51, v53
	v_add_f32_e32 v51, v51, v52
	v_exp_f32_e32 v51, v51
	v_cvt_i32_f32_e32 v52, v53
	s_mov_b32 s3, 0x42ce8ed0
	v_cmp_nlt_f32_e32 vcc, s3, v50
	s_mov_b32 s3, 0xc2b17218
	v_ldexp_f32 v51, v51, v52
	v_cndmask_b32_e32 v51, 0, v51, vcc
	v_mov_b32_e32 v52, 0x7f800000
	v_cmp_ngt_f32_e32 vcc, s3, v50
	s_nop 1
	v_cndmask_b32_e32 v50, v52, v51, vcc
	v_sub_f32_e32 v50, 1.0, v50
.LBB3_34:
	s_andn2_saveexec_b64 s[0:1], s[0:1]
; %bb.35:
	v_mul_f32_e32 v50, v49, v49
	v_mov_b32_e32 v51, 0x3ba10414
	v_fmac_f32_e32 v51, 0xba1345e1, v50
	v_fmaak_f32 v51, v50, v51, 0xbcdac9b8
	v_fmaak_f32 v51, v50, v51, 0x3de703be
	;; [unrolled: 1-line block ×4, first 2 shown]
	v_fma_f32 v50, |v49|, v50, |v49|
; %bb.36:
	s_or_b64 exec, exec, s[0:1]
	v_mul_f32_e32 v51, 0x3f3504f3, v27
	v_cmp_nlt_f32_e64 s[0:1], |v51|, 1.0
                                        ; implicit-def: $vgpr52
	s_and_saveexec_b64 s[6:7], s[0:1]
	s_xor_b64 s[0:1], exec, s[6:7]
	s_cbranch_execz .LBB3_38
; %bb.37:
	s_mov_b32 s3, 0x378e98ab
	v_mov_b32_e32 v52, 0xb9c68948
	v_fma_f32 v52, |v51|, s3, v52
	s_mov_b32 s3, 0x3b7cd369
	v_fma_f32 v52, |v51|, v52, s3
	s_mov_b32 s3, 0xbcc618b2
	;; [unrolled: 2-line block ×5, first 2 shown]
	v_fma_f32 v52, |v51|, v52, s3
	v_fma_f32 v52, |v51|, v52, |v51|
	s_mov_b32 s3, 0xbfb8aa3b
	v_mul_f32_e32 v53, 0xbfb8aa3b, v52
	v_fma_f32 v54, v52, s3, -v53
	v_rndne_f32_e32 v55, v53
	v_fmamk_f32 v54, v52, 0xb2a5705f, v54
	v_sub_f32_e32 v53, v53, v55
	v_add_f32_e32 v53, v53, v54
	v_exp_f32_e32 v53, v53
	v_cvt_i32_f32_e32 v54, v55
	s_mov_b32 s3, 0x42ce8ed0
	v_cmp_nlt_f32_e32 vcc, s3, v52
	s_mov_b32 s3, 0xc2b17218
	v_ldexp_f32 v53, v53, v54
	v_cndmask_b32_e32 v53, 0, v53, vcc
	v_mov_b32_e32 v54, 0x7f800000
	v_cmp_ngt_f32_e32 vcc, s3, v52
	s_nop 1
	v_cndmask_b32_e32 v52, v54, v53, vcc
	v_sub_f32_e32 v52, 1.0, v52
.LBB3_38:
	s_andn2_saveexec_b64 s[0:1], s[0:1]
; %bb.39:
	v_mul_f32_e32 v52, v51, v51
	v_mov_b32_e32 v53, 0x3ba10414
	v_fmac_f32_e32 v53, 0xba1345e1, v52
	v_fmaak_f32 v53, v52, v53, 0xbcdac9b8
	v_fmaak_f32 v53, v52, v53, 0x3de703be
	;; [unrolled: 1-line block ×4, first 2 shown]
	v_fma_f32 v52, |v51|, v52, |v51|
; %bb.40:
	s_or_b64 exec, exec, s[0:1]
	v_mul_f32_e32 v53, 0x3f3504f3, v28
	v_cmp_nlt_f32_e64 s[0:1], |v53|, 1.0
                                        ; implicit-def: $vgpr54
	s_and_saveexec_b64 s[6:7], s[0:1]
	s_xor_b64 s[0:1], exec, s[6:7]
	s_cbranch_execz .LBB3_42
; %bb.41:
	s_mov_b32 s3, 0x378e98ab
	v_mov_b32_e32 v54, 0xb9c68948
	v_fma_f32 v54, |v53|, s3, v54
	s_mov_b32 s3, 0x3b7cd369
	v_fma_f32 v54, |v53|, v54, s3
	s_mov_b32 s3, 0xbcc618b2
	;; [unrolled: 2-line block ×5, first 2 shown]
	v_fma_f32 v54, |v53|, v54, s3
	v_fma_f32 v54, |v53|, v54, |v53|
	s_mov_b32 s3, 0xbfb8aa3b
	v_mul_f32_e32 v55, 0xbfb8aa3b, v54
	v_fma_f32 v56, v54, s3, -v55
	v_rndne_f32_e32 v57, v55
	v_fmamk_f32 v56, v54, 0xb2a5705f, v56
	v_sub_f32_e32 v55, v55, v57
	v_add_f32_e32 v55, v55, v56
	v_exp_f32_e32 v55, v55
	v_cvt_i32_f32_e32 v56, v57
	s_mov_b32 s3, 0x42ce8ed0
	v_cmp_nlt_f32_e32 vcc, s3, v54
	s_mov_b32 s3, 0xc2b17218
	v_ldexp_f32 v55, v55, v56
	v_cndmask_b32_e32 v55, 0, v55, vcc
	v_mov_b32_e32 v56, 0x7f800000
	v_cmp_ngt_f32_e32 vcc, s3, v54
	s_nop 1
	v_cndmask_b32_e32 v54, v56, v55, vcc
	v_sub_f32_e32 v54, 1.0, v54
.LBB3_42:
	s_andn2_saveexec_b64 s[0:1], s[0:1]
; %bb.43:
	v_mul_f32_e32 v54, v53, v53
	v_mov_b32_e32 v55, 0x3ba10414
	v_fmac_f32_e32 v55, 0xba1345e1, v54
	v_fmaak_f32 v55, v54, v55, 0xbcdac9b8
	v_fmaak_f32 v55, v54, v55, 0x3de703be
	;; [unrolled: 1-line block ×4, first 2 shown]
	v_fma_f32 v54, |v53|, v54, |v53|
; %bb.44:
	s_or_b64 exec, exec, s[0:1]
	v_mul_f32_e32 v55, 0x3f3504f3, v29
	v_cmp_nlt_f32_e64 s[0:1], |v55|, 1.0
                                        ; implicit-def: $vgpr56
	s_and_saveexec_b64 s[6:7], s[0:1]
	s_xor_b64 s[0:1], exec, s[6:7]
	s_cbranch_execz .LBB3_46
; %bb.45:
	s_mov_b32 s3, 0x378e98ab
	v_mov_b32_e32 v56, 0xb9c68948
	v_fma_f32 v56, |v55|, s3, v56
	s_mov_b32 s3, 0x3b7cd369
	v_fma_f32 v56, |v55|, v56, s3
	s_mov_b32 s3, 0xbcc618b2
	;; [unrolled: 2-line block ×5, first 2 shown]
	v_fma_f32 v56, |v55|, v56, s3
	v_fma_f32 v56, |v55|, v56, |v55|
	s_mov_b32 s3, 0xbfb8aa3b
	v_mul_f32_e32 v57, 0xbfb8aa3b, v56
	v_fma_f32 v58, v56, s3, -v57
	v_rndne_f32_e32 v59, v57
	v_fmamk_f32 v58, v56, 0xb2a5705f, v58
	v_sub_f32_e32 v57, v57, v59
	v_add_f32_e32 v57, v57, v58
	v_exp_f32_e32 v57, v57
	v_cvt_i32_f32_e32 v58, v59
	s_mov_b32 s3, 0x42ce8ed0
	v_cmp_nlt_f32_e32 vcc, s3, v56
	s_mov_b32 s3, 0xc2b17218
	v_ldexp_f32 v57, v57, v58
	v_cndmask_b32_e32 v57, 0, v57, vcc
	v_mov_b32_e32 v58, 0x7f800000
	v_cmp_ngt_f32_e32 vcc, s3, v56
	s_nop 1
	v_cndmask_b32_e32 v56, v58, v57, vcc
	v_sub_f32_e32 v56, 1.0, v56
.LBB3_46:
	s_andn2_saveexec_b64 s[0:1], s[0:1]
; %bb.47:
	v_mul_f32_e32 v56, v55, v55
	v_mov_b32_e32 v57, 0x3ba10414
	v_fmac_f32_e32 v57, 0xba1345e1, v56
	v_fmaak_f32 v57, v56, v57, 0xbcdac9b8
	v_fmaak_f32 v57, v56, v57, 0x3de703be
	;; [unrolled: 1-line block ×4, first 2 shown]
	v_fma_f32 v56, |v55|, v56, |v55|
; %bb.48:
	s_or_b64 exec, exec, s[0:1]
	v_mul_f32_e32 v57, 0x3f3504f3, v30
	v_cmp_nlt_f32_e64 s[0:1], |v57|, 1.0
                                        ; implicit-def: $vgpr58
	s_and_saveexec_b64 s[6:7], s[0:1]
	s_xor_b64 s[0:1], exec, s[6:7]
	s_cbranch_execz .LBB3_50
; %bb.49:
	s_mov_b32 s3, 0x378e98ab
	v_mov_b32_e32 v58, 0xb9c68948
	v_fma_f32 v58, |v57|, s3, v58
	s_mov_b32 s3, 0x3b7cd369
	v_fma_f32 v58, |v57|, v58, s3
	s_mov_b32 s3, 0xbcc618b2
	;; [unrolled: 2-line block ×5, first 2 shown]
	v_fma_f32 v58, |v57|, v58, s3
	v_fma_f32 v58, |v57|, v58, |v57|
	s_mov_b32 s3, 0xbfb8aa3b
	v_mul_f32_e32 v59, 0xbfb8aa3b, v58
	v_fma_f32 v60, v58, s3, -v59
	v_rndne_f32_e32 v61, v59
	v_fmamk_f32 v60, v58, 0xb2a5705f, v60
	v_sub_f32_e32 v59, v59, v61
	v_add_f32_e32 v59, v59, v60
	v_exp_f32_e32 v59, v59
	v_cvt_i32_f32_e32 v60, v61
	s_mov_b32 s3, 0x42ce8ed0
	v_cmp_nlt_f32_e32 vcc, s3, v58
	s_mov_b32 s3, 0xc2b17218
	v_ldexp_f32 v59, v59, v60
	v_cndmask_b32_e32 v59, 0, v59, vcc
	v_mov_b32_e32 v60, 0x7f800000
	v_cmp_ngt_f32_e32 vcc, s3, v58
	s_nop 1
	v_cndmask_b32_e32 v58, v60, v59, vcc
	v_sub_f32_e32 v58, 1.0, v58
.LBB3_50:
	s_andn2_saveexec_b64 s[0:1], s[0:1]
; %bb.51:
	v_mul_f32_e32 v58, v57, v57
	v_mov_b32_e32 v59, 0x3ba10414
	v_fmac_f32_e32 v59, 0xba1345e1, v58
	v_fmaak_f32 v59, v58, v59, 0xbcdac9b8
	v_fmaak_f32 v59, v58, v59, 0x3de703be
	;; [unrolled: 1-line block ×4, first 2 shown]
	v_fma_f32 v58, |v57|, v58, |v57|
; %bb.52:
	s_or_b64 exec, exec, s[0:1]
	v_mul_f32_e32 v59, 0x3f3504f3, v31
	v_cmp_nlt_f32_e64 s[0:1], |v59|, 1.0
                                        ; implicit-def: $vgpr60
	s_and_saveexec_b64 s[6:7], s[0:1]
	s_xor_b64 s[0:1], exec, s[6:7]
	s_cbranch_execz .LBB3_54
; %bb.53:
	s_mov_b32 s3, 0x378e98ab
	v_mov_b32_e32 v60, 0xb9c68948
	v_fma_f32 v60, |v59|, s3, v60
	s_mov_b32 s3, 0x3b7cd369
	v_fma_f32 v60, |v59|, v60, s3
	s_mov_b32 s3, 0xbcc618b2
	;; [unrolled: 2-line block ×5, first 2 shown]
	v_fma_f32 v60, |v59|, v60, s3
	v_fma_f32 v60, |v59|, v60, |v59|
	s_mov_b32 s3, 0xbfb8aa3b
	v_mul_f32_e32 v61, 0xbfb8aa3b, v60
	v_fma_f32 v62, v60, s3, -v61
	v_rndne_f32_e32 v63, v61
	v_fmamk_f32 v62, v60, 0xb2a5705f, v62
	v_sub_f32_e32 v61, v61, v63
	v_add_f32_e32 v61, v61, v62
	v_exp_f32_e32 v61, v61
	v_cvt_i32_f32_e32 v62, v63
	s_mov_b32 s3, 0x42ce8ed0
	v_cmp_nlt_f32_e32 vcc, s3, v60
	s_mov_b32 s3, 0xc2b17218
	v_ldexp_f32 v61, v61, v62
	v_cndmask_b32_e32 v61, 0, v61, vcc
	v_mov_b32_e32 v62, 0x7f800000
	v_cmp_ngt_f32_e32 vcc, s3, v60
	s_nop 1
	v_cndmask_b32_e32 v60, v62, v61, vcc
	v_sub_f32_e32 v60, 1.0, v60
.LBB3_54:
	s_andn2_saveexec_b64 s[0:1], s[0:1]
; %bb.55:
	v_mul_f32_e32 v60, v59, v59
	v_mov_b32_e32 v61, 0x3ba10414
	v_fmac_f32_e32 v61, 0xba1345e1, v60
	v_fmaak_f32 v61, v60, v61, 0xbcdac9b8
	v_fmaak_f32 v61, v60, v61, 0x3de703be
	;; [unrolled: 1-line block ×4, first 2 shown]
	v_fma_f32 v60, |v59|, v60, |v59|
; %bb.56:
	s_or_b64 exec, exec, s[0:1]
	v_mul_f32_e32 v61, 0x3f3504f3, v32
	v_cmp_nlt_f32_e64 s[0:1], |v61|, 1.0
                                        ; implicit-def: $vgpr62
	s_and_saveexec_b64 s[6:7], s[0:1]
	s_xor_b64 s[0:1], exec, s[6:7]
	s_cbranch_execz .LBB3_58
; %bb.57:
	s_mov_b32 s3, 0x378e98ab
	v_mov_b32_e32 v62, 0xb9c68948
	v_fma_f32 v62, |v61|, s3, v62
	s_mov_b32 s3, 0x3b7cd369
	v_fma_f32 v62, |v61|, v62, s3
	s_mov_b32 s3, 0xbcc618b2
	;; [unrolled: 2-line block ×5, first 2 shown]
	v_fma_f32 v62, |v61|, v62, s3
	v_fma_f32 v62, |v61|, v62, |v61|
	s_mov_b32 s3, 0xbfb8aa3b
	v_mul_f32_e32 v63, 0xbfb8aa3b, v62
	v_fma_f32 v64, v62, s3, -v63
	v_rndne_f32_e32 v65, v63
	v_fmamk_f32 v64, v62, 0xb2a5705f, v64
	v_sub_f32_e32 v63, v63, v65
	v_add_f32_e32 v63, v63, v64
	v_exp_f32_e32 v63, v63
	v_cvt_i32_f32_e32 v64, v65
	s_mov_b32 s3, 0x42ce8ed0
	v_cmp_nlt_f32_e32 vcc, s3, v62
	s_mov_b32 s3, 0xc2b17218
	v_ldexp_f32 v63, v63, v64
	v_cndmask_b32_e32 v63, 0, v63, vcc
	v_mov_b32_e32 v64, 0x7f800000
	v_cmp_ngt_f32_e32 vcc, s3, v62
	s_nop 1
	v_cndmask_b32_e32 v62, v64, v63, vcc
	v_sub_f32_e32 v62, 1.0, v62
.LBB3_58:
	s_andn2_saveexec_b64 s[0:1], s[0:1]
; %bb.59:
	v_mul_f32_e32 v62, v61, v61
	v_mov_b32_e32 v63, 0x3ba10414
	v_fmac_f32_e32 v63, 0xba1345e1, v62
	v_fmaak_f32 v63, v62, v63, 0xbcdac9b8
	v_fmaak_f32 v63, v62, v63, 0x3de703be
	;; [unrolled: 1-line block ×4, first 2 shown]
	v_fma_f32 v62, |v61|, v62, |v61|
; %bb.60:
	s_or_b64 exec, exec, s[0:1]
	v_mul_f32_e32 v63, 0x3f3504f3, v33
	v_lshlrev_b32_e32 v0, 3, v0
	v_cmp_nlt_f32_e64 s[0:1], |v63|, 1.0
                                        ; implicit-def: $vgpr64
	s_and_saveexec_b64 s[6:7], s[0:1]
	s_xor_b64 s[0:1], exec, s[6:7]
	s_cbranch_execz .LBB3_62
; %bb.61:
	s_mov_b32 s3, 0x378e98ab
	v_mov_b32_e32 v64, 0xb9c68948
	v_fma_f32 v64, |v63|, s3, v64
	s_mov_b32 s3, 0x3b7cd369
	v_fma_f32 v64, |v63|, v64, s3
	s_mov_b32 s3, 0xbcc618b2
	;; [unrolled: 2-line block ×5, first 2 shown]
	v_fma_f32 v64, |v63|, v64, s3
	v_fma_f32 v64, |v63|, v64, |v63|
	s_mov_b32 s3, 0xbfb8aa3b
	v_mul_f32_e32 v65, 0xbfb8aa3b, v64
	v_fma_f32 v66, v64, s3, -v65
	v_rndne_f32_e32 v67, v65
	v_fmamk_f32 v66, v64, 0xb2a5705f, v66
	v_sub_f32_e32 v65, v65, v67
	v_add_f32_e32 v65, v65, v66
	v_exp_f32_e32 v65, v65
	v_cvt_i32_f32_e32 v66, v67
	s_mov_b32 s3, 0x42ce8ed0
	v_cmp_nlt_f32_e32 vcc, s3, v64
	s_mov_b32 s3, 0xc2b17218
	v_ldexp_f32 v65, v65, v66
	v_cndmask_b32_e32 v65, 0, v65, vcc
	v_mov_b32_e32 v66, 0x7f800000
	v_cmp_ngt_f32_e32 vcc, s3, v64
	s_nop 1
	v_cndmask_b32_e32 v64, v66, v65, vcc
	v_sub_f32_e32 v64, 1.0, v64
.LBB3_62:
	s_andn2_saveexec_b64 s[0:1], s[0:1]
; %bb.63:
	v_mul_f32_e32 v64, v63, v63
	v_mov_b32_e32 v65, 0x3ba10414
	v_fmac_f32_e32 v65, 0xba1345e1, v64
	v_fmaak_f32 v65, v64, v65, 0xbcdac9b8
	v_fmaak_f32 v65, v64, v65, 0x3de703be
	v_fmaak_f32 v65, v64, v65, 0xbec09330
	v_fmaak_f32 v64, v64, v65, 0x3e0375d0
	v_fma_f32 v64, |v63|, v64, |v63|
; %bb.64:
	s_or_b64 exec, exec, s[0:1]
	s_brev_b32 s0, -2
	v_bfi_b32 v35, s0, v36, v35
	v_bfi_b32 v34, s0, v34, v1
	v_pk_mul_f32 v[18:19], v[18:19], 0.5 op_sel_hi:[1,0]
	v_pk_add_f32 v[34:35], v[34:35], 1.0 op_sel_hi:[1,0]
	v_bfi_b32 v39, s0, v40, v39
	v_bfi_b32 v38, s0, v38, v37
	v_pk_mul_f32 v[18:19], v[18:19], v[34:35]
	v_pk_mul_f32 v[20:21], v[20:21], 0.5 op_sel_hi:[1,0]
	v_lshlrev_b32_e32 v0, 2, v0
	v_mov_b32_e32 v1, 0
	v_pk_mul_f32 v[14:15], v[14:15], v[18:19]
	v_pk_add_f32 v[18:19], v[38:39], 1.0 op_sel_hi:[1,0]
	s_lshl_b32 s2, s2, 1
	v_lshl_add_u64 v[0:1], s[4:5], 0, v[0:1]
	v_mov_b32_e32 v40, 0x1400
	v_pk_mul_f32 v[18:19], v[20:21], v[18:19]
	v_bfi_b32 v63, s0, v64, v63
	v_bfi_b32 v62, s0, v62, v61
	;; [unrolled: 1-line block ×12, first 2 shown]
	v_mad_i64_i32 v[36:37], s[0:1], s2, v40, v[0:1]
	v_pk_mul_f32 v[16:17], v[16:17], v[18:19]
	v_pk_mul_f32 v[22:23], v[22:23], 0.5 op_sel_hi:[1,0]
	global_store_dwordx4 v[36:37], v[14:17], off
	v_pk_mul_f32 v[24:25], v[24:25], 0.5 op_sel_hi:[1,0]
	s_or_b32 s0, s2, 1
	v_pk_add_f32 v[14:15], v[42:43], 1.0 op_sel_hi:[1,0]
	v_pk_mul_f32 v[26:27], v[26:27], 0.5 op_sel_hi:[1,0]
	v_pk_mul_f32 v[14:15], v[22:23], v[14:15]
	v_pk_mul_f32 v[28:29], v[28:29], 0.5 op_sel_hi:[1,0]
	v_pk_mul_f32 v[6:7], v[6:7], v[14:15]
	v_pk_add_f32 v[14:15], v[46:47], 1.0 op_sel_hi:[1,0]
	v_pk_mul_f32 v[30:31], v[30:31], 0.5 op_sel_hi:[1,0]
	v_pk_mul_f32 v[14:15], v[24:25], v[14:15]
	v_pk_mul_f32 v[32:33], v[32:33], 0.5 op_sel_hi:[1,0]
	v_pk_mul_f32 v[8:9], v[8:9], v[14:15]
	v_mad_i64_i32 v[14:15], s[0:1], s0, v40, v[0:1]
	v_pk_add_f32 v[0:1], v[50:51], 1.0 op_sel_hi:[1,0]
	global_store_dwordx4 v[36:37], v[6:9], off offset:16
	v_pk_mul_f32 v[0:1], v[26:27], v[0:1]
	s_nop 0
	v_pk_mul_f32 v[6:7], v[10:11], v[0:1]
	v_pk_add_f32 v[0:1], v[54:55], 1.0 op_sel_hi:[1,0]
	s_nop 0
	v_pk_mul_f32 v[0:1], v[28:29], v[0:1]
	s_nop 0
	v_pk_mul_f32 v[8:9], v[12:13], v[0:1]
	v_pk_add_f32 v[0:1], v[58:59], 1.0 op_sel_hi:[1,0]
	global_store_dwordx4 v[14:15], v[6:9], off
	v_pk_mul_f32 v[0:1], v[30:31], v[0:1]
	s_nop 0
	v_pk_mul_f32 v[0:1], v[2:3], v[0:1]
	v_pk_add_f32 v[2:3], v[62:63], 1.0 op_sel_hi:[1,0]
	s_nop 0
	v_pk_mul_f32 v[2:3], v[32:33], v[2:3]
	s_nop 0
	v_pk_mul_f32 v[2:3], v[4:5], v[2:3]
	global_store_dwordx4 v[14:15], v[0:3], off offset:16
	s_endpgm
	.section	.rodata,"a",@progbits
	.p2align	6, 0x0
	.amdhsa_kernel _Z12geglu_kernelIffLi160ELi1280ELi8ELi2EEvPT_PKS0_
		.amdhsa_group_segment_fixed_size 0
		.amdhsa_private_segment_fixed_size 0
		.amdhsa_kernarg_size 16
		.amdhsa_user_sgpr_count 2
		.amdhsa_user_sgpr_dispatch_ptr 0
		.amdhsa_user_sgpr_queue_ptr 0
		.amdhsa_user_sgpr_kernarg_segment_ptr 1
		.amdhsa_user_sgpr_dispatch_id 0
		.amdhsa_user_sgpr_kernarg_preload_length 0
		.amdhsa_user_sgpr_kernarg_preload_offset 0
		.amdhsa_user_sgpr_private_segment_size 0
		.amdhsa_uses_dynamic_stack 0
		.amdhsa_enable_private_segment 0
		.amdhsa_system_sgpr_workgroup_id_x 1
		.amdhsa_system_sgpr_workgroup_id_y 0
		.amdhsa_system_sgpr_workgroup_id_z 0
		.amdhsa_system_sgpr_workgroup_info 0
		.amdhsa_system_vgpr_workitem_id 0
		.amdhsa_next_free_vgpr 68
		.amdhsa_next_free_sgpr 8
		.amdhsa_accum_offset 68
		.amdhsa_reserve_vcc 1
		.amdhsa_float_round_mode_32 0
		.amdhsa_float_round_mode_16_64 0
		.amdhsa_float_denorm_mode_32 3
		.amdhsa_float_denorm_mode_16_64 3
		.amdhsa_dx10_clamp 1
		.amdhsa_ieee_mode 1
		.amdhsa_fp16_overflow 0
		.amdhsa_tg_split 0
		.amdhsa_exception_fp_ieee_invalid_op 0
		.amdhsa_exception_fp_denorm_src 0
		.amdhsa_exception_fp_ieee_div_zero 0
		.amdhsa_exception_fp_ieee_overflow 0
		.amdhsa_exception_fp_ieee_underflow 0
		.amdhsa_exception_fp_ieee_inexact 0
		.amdhsa_exception_int_div_zero 0
	.end_amdhsa_kernel
	.section	.text._Z12geglu_kernelIffLi160ELi1280ELi8ELi2EEvPT_PKS0_,"axG",@progbits,_Z12geglu_kernelIffLi160ELi1280ELi8ELi2EEvPT_PKS0_,comdat
.Lfunc_end3:
	.size	_Z12geglu_kernelIffLi160ELi1280ELi8ELi2EEvPT_PKS0_, .Lfunc_end3-_Z12geglu_kernelIffLi160ELi1280ELi8ELi2EEvPT_PKS0_
                                        ; -- End function
	.set _Z12geglu_kernelIffLi160ELi1280ELi8ELi2EEvPT_PKS0_.num_vgpr, 68
	.set _Z12geglu_kernelIffLi160ELi1280ELi8ELi2EEvPT_PKS0_.num_agpr, 0
	.set _Z12geglu_kernelIffLi160ELi1280ELi8ELi2EEvPT_PKS0_.numbered_sgpr, 8
	.set _Z12geglu_kernelIffLi160ELi1280ELi8ELi2EEvPT_PKS0_.num_named_barrier, 0
	.set _Z12geglu_kernelIffLi160ELi1280ELi8ELi2EEvPT_PKS0_.private_seg_size, 0
	.set _Z12geglu_kernelIffLi160ELi1280ELi8ELi2EEvPT_PKS0_.uses_vcc, 1
	.set _Z12geglu_kernelIffLi160ELi1280ELi8ELi2EEvPT_PKS0_.uses_flat_scratch, 0
	.set _Z12geglu_kernelIffLi160ELi1280ELi8ELi2EEvPT_PKS0_.has_dyn_sized_stack, 0
	.set _Z12geglu_kernelIffLi160ELi1280ELi8ELi2EEvPT_PKS0_.has_recursion, 0
	.set _Z12geglu_kernelIffLi160ELi1280ELi8ELi2EEvPT_PKS0_.has_indirect_call, 0
	.section	.AMDGPU.csdata,"",@progbits
; Kernel info:
; codeLenInByte = 5720
; TotalNumSgprs: 14
; NumVgprs: 68
; NumAgprs: 0
; TotalNumVgprs: 68
; ScratchSize: 0
; MemoryBound: 0
; FloatMode: 240
; IeeeMode: 1
; LDSByteSize: 0 bytes/workgroup (compile time only)
; SGPRBlocks: 1
; VGPRBlocks: 8
; NumSGPRsForWavesPerEU: 14
; NumVGPRsForWavesPerEU: 68
; AccumOffset: 68
; Occupancy: 7
; WaveLimiterHint : 0
; COMPUTE_PGM_RSRC2:SCRATCH_EN: 0
; COMPUTE_PGM_RSRC2:USER_SGPR: 2
; COMPUTE_PGM_RSRC2:TRAP_HANDLER: 0
; COMPUTE_PGM_RSRC2:TGID_X_EN: 1
; COMPUTE_PGM_RSRC2:TGID_Y_EN: 0
; COMPUTE_PGM_RSRC2:TGID_Z_EN: 0
; COMPUTE_PGM_RSRC2:TIDIG_COMP_CNT: 0
; COMPUTE_PGM_RSRC3_GFX90A:ACCUM_OFFSET: 16
; COMPUTE_PGM_RSRC3_GFX90A:TG_SPLIT: 0
	.section	.text._Z12geglu_kernelIffLi160ELi2560ELi8ELi2EEvPT_PKS0_,"axG",@progbits,_Z12geglu_kernelIffLi160ELi2560ELi8ELi2EEvPT_PKS0_,comdat
	.protected	_Z12geglu_kernelIffLi160ELi2560ELi8ELi2EEvPT_PKS0_ ; -- Begin function _Z12geglu_kernelIffLi160ELi2560ELi8ELi2EEvPT_PKS0_
	.globl	_Z12geglu_kernelIffLi160ELi2560ELi8ELi2EEvPT_PKS0_
	.p2align	8
	.type	_Z12geglu_kernelIffLi160ELi2560ELi8ELi2EEvPT_PKS0_,@function
_Z12geglu_kernelIffLi160ELi2560ELi8ELi2EEvPT_PKS0_: ; @_Z12geglu_kernelIffLi160ELi2560ELi8ELi2EEvPT_PKS0_
; %bb.0:
	s_load_dwordx4 s[4:7], s[0:1], 0x0
	s_lshl_b32 s3, s2, 1
	s_mul_i32 s0, s2, 0x5000
	s_mul_hi_u32 s1, s3, 0x2800
	v_mov_b32_e32 v3, 0
	s_waitcnt lgkmcnt(0)
	s_add_u32 s0, s6, s0
	s_addc_u32 s1, s7, s1
	s_or_b32 s3, s3, 1
	s_mul_hi_u32 s8, s3, 0x2800
	s_mulk_i32 s3, 0x2800
	s_add_u32 s6, s6, s3
	s_addc_u32 s7, s7, s8
	v_lshlrev_b32_e32 v2, 5, v0
	v_lshl_add_u64 v[4:5], s[0:1], 0, v[2:3]
	v_lshl_add_u64 v[10:11], s[6:7], 0, v[2:3]
	global_load_dwordx4 v[6:9], v2, s[0:1] offset:16
	global_load_dwordx4 v[14:17], v2, s[0:1]
	global_load_dwordx4 v[22:25], v2, s[6:7] offset:16
	global_load_dwordx4 v[18:21], v2, s[6:7]
	s_mov_b64 s[0:1], 0x1400
	v_lshl_add_u64 v[34:35], v[4:5], 0, s[0:1]
	v_lshl_add_u64 v[36:37], v[10:11], 0, s[0:1]
	s_movk_i32 s0, 0x1000
	v_add_co_u32_e32 v38, vcc, s0, v4
	s_waitcnt vmcnt(0)
	v_mul_f32_e32 v1, 0x3f3504f3, v18
	v_addc_co_u32_e32 v39, vcc, 0, v5, vcc
	v_add_co_u32_e32 v40, vcc, 0x1000, v10
	v_cmp_nlt_f32_e64 s[0:1], |v1|, 1.0
	s_nop 0
	v_addc_co_u32_e32 v41, vcc, 0, v11, vcc
	global_load_dwordx4 v[10:13], v[38:39], off offset:1024
	global_load_dwordx4 v[26:29], v[40:41], off offset:1024
	;; [unrolled: 1-line block ×4, first 2 shown]
                                        ; implicit-def: $vgpr34
	s_and_saveexec_b64 s[6:7], s[0:1]
	s_xor_b64 s[0:1], exec, s[6:7]
	s_cbranch_execz .LBB4_2
; %bb.1:
	s_mov_b32 s3, 0x378e98ab
	v_mov_b32_e32 v34, 0xb9c68948
	v_fma_f32 v34, |v1|, s3, v34
	s_mov_b32 s3, 0x3b7cd369
	v_fma_f32 v34, |v1|, v34, s3
	s_mov_b32 s3, 0xbcc618b2
	;; [unrolled: 2-line block ×5, first 2 shown]
	v_fma_f32 v34, |v1|, v34, s3
	v_fma_f32 v34, |v1|, v34, |v1|
	s_mov_b32 s3, 0xbfb8aa3b
	v_mul_f32_e32 v35, 0xbfb8aa3b, v34
	v_fma_f32 v36, v34, s3, -v35
	v_rndne_f32_e32 v37, v35
	v_fmamk_f32 v36, v34, 0xb2a5705f, v36
	v_sub_f32_e32 v35, v35, v37
	v_add_f32_e32 v35, v35, v36
	v_exp_f32_e32 v35, v35
	v_cvt_i32_f32_e32 v36, v37
	s_mov_b32 s3, 0x42ce8ed0
	v_cmp_nlt_f32_e32 vcc, s3, v34
	s_mov_b32 s3, 0xc2b17218
	v_ldexp_f32 v35, v35, v36
	v_cndmask_b32_e32 v35, 0, v35, vcc
	v_mov_b32_e32 v36, 0x7f800000
	v_cmp_ngt_f32_e32 vcc, s3, v34
	s_nop 1
	v_cndmask_b32_e32 v34, v36, v35, vcc
	v_sub_f32_e32 v34, 1.0, v34
.LBB4_2:
	s_andn2_saveexec_b64 s[0:1], s[0:1]
; %bb.3:
	v_mul_f32_e32 v34, v1, v1
	v_mov_b32_e32 v35, 0x3ba10414
	v_fmac_f32_e32 v35, 0xba1345e1, v34
	v_fmaak_f32 v35, v34, v35, 0xbcdac9b8
	v_fmaak_f32 v35, v34, v35, 0x3de703be
	;; [unrolled: 1-line block ×4, first 2 shown]
	v_fma_f32 v34, |v1|, v34, |v1|
; %bb.4:
	s_or_b64 exec, exec, s[0:1]
	v_mul_f32_e32 v35, 0x3f3504f3, v19
	v_cmp_nlt_f32_e64 s[0:1], |v35|, 1.0
                                        ; implicit-def: $vgpr36
	s_and_saveexec_b64 s[6:7], s[0:1]
	s_xor_b64 s[0:1], exec, s[6:7]
	s_cbranch_execz .LBB4_6
; %bb.5:
	s_mov_b32 s3, 0x378e98ab
	v_mov_b32_e32 v36, 0xb9c68948
	v_fma_f32 v36, |v35|, s3, v36
	s_mov_b32 s3, 0x3b7cd369
	v_fma_f32 v36, |v35|, v36, s3
	s_mov_b32 s3, 0xbcc618b2
	;; [unrolled: 2-line block ×5, first 2 shown]
	v_fma_f32 v36, |v35|, v36, s3
	v_fma_f32 v36, |v35|, v36, |v35|
	s_mov_b32 s3, 0xbfb8aa3b
	v_mul_f32_e32 v37, 0xbfb8aa3b, v36
	v_fma_f32 v38, v36, s3, -v37
	v_rndne_f32_e32 v39, v37
	v_fmamk_f32 v38, v36, 0xb2a5705f, v38
	v_sub_f32_e32 v37, v37, v39
	v_add_f32_e32 v37, v37, v38
	v_exp_f32_e32 v37, v37
	v_cvt_i32_f32_e32 v38, v39
	s_mov_b32 s3, 0x42ce8ed0
	v_cmp_nlt_f32_e32 vcc, s3, v36
	s_mov_b32 s3, 0xc2b17218
	v_ldexp_f32 v37, v37, v38
	v_cndmask_b32_e32 v37, 0, v37, vcc
	v_mov_b32_e32 v38, 0x7f800000
	v_cmp_ngt_f32_e32 vcc, s3, v36
	s_nop 1
	v_cndmask_b32_e32 v36, v38, v37, vcc
	v_sub_f32_e32 v36, 1.0, v36
.LBB4_6:
	s_andn2_saveexec_b64 s[0:1], s[0:1]
; %bb.7:
	v_mul_f32_e32 v36, v35, v35
	v_mov_b32_e32 v37, 0x3ba10414
	v_fmac_f32_e32 v37, 0xba1345e1, v36
	v_fmaak_f32 v37, v36, v37, 0xbcdac9b8
	v_fmaak_f32 v37, v36, v37, 0x3de703be
	;; [unrolled: 1-line block ×4, first 2 shown]
	v_fma_f32 v36, |v35|, v36, |v35|
; %bb.8:
	s_or_b64 exec, exec, s[0:1]
	v_mul_f32_e32 v37, 0x3f3504f3, v20
	v_cmp_nlt_f32_e64 s[0:1], |v37|, 1.0
                                        ; implicit-def: $vgpr38
	s_and_saveexec_b64 s[6:7], s[0:1]
	s_xor_b64 s[0:1], exec, s[6:7]
	s_cbranch_execz .LBB4_10
; %bb.9:
	s_mov_b32 s3, 0x378e98ab
	v_mov_b32_e32 v38, 0xb9c68948
	v_fma_f32 v38, |v37|, s3, v38
	s_mov_b32 s3, 0x3b7cd369
	v_fma_f32 v38, |v37|, v38, s3
	s_mov_b32 s3, 0xbcc618b2
	v_fma_f32 v38, |v37|, v38, s3
	s_mov_b32 s3, 0x3dda74e4
	v_fma_f32 v38, |v37|, v38, s3
	s_mov_b32 s3, 0x3f228afd
	v_fma_f32 v38, |v37|, v38, s3
	s_mov_b32 s3, 0x3e03c728
	v_fma_f32 v38, |v37|, v38, s3
	v_fma_f32 v38, |v37|, v38, |v37|
	s_mov_b32 s3, 0xbfb8aa3b
	v_mul_f32_e32 v39, 0xbfb8aa3b, v38
	v_fma_f32 v40, v38, s3, -v39
	v_rndne_f32_e32 v41, v39
	v_fmamk_f32 v40, v38, 0xb2a5705f, v40
	v_sub_f32_e32 v39, v39, v41
	v_add_f32_e32 v39, v39, v40
	v_exp_f32_e32 v39, v39
	v_cvt_i32_f32_e32 v40, v41
	s_mov_b32 s3, 0x42ce8ed0
	v_cmp_nlt_f32_e32 vcc, s3, v38
	s_mov_b32 s3, 0xc2b17218
	v_ldexp_f32 v39, v39, v40
	v_cndmask_b32_e32 v39, 0, v39, vcc
	v_mov_b32_e32 v40, 0x7f800000
	v_cmp_ngt_f32_e32 vcc, s3, v38
	s_nop 1
	v_cndmask_b32_e32 v38, v40, v39, vcc
	v_sub_f32_e32 v38, 1.0, v38
.LBB4_10:
	s_andn2_saveexec_b64 s[0:1], s[0:1]
; %bb.11:
	v_mul_f32_e32 v38, v37, v37
	v_mov_b32_e32 v39, 0x3ba10414
	v_fmac_f32_e32 v39, 0xba1345e1, v38
	v_fmaak_f32 v39, v38, v39, 0xbcdac9b8
	v_fmaak_f32 v39, v38, v39, 0x3de703be
	v_fmaak_f32 v39, v38, v39, 0xbec09330
	v_fmaak_f32 v38, v38, v39, 0x3e0375d0
	v_fma_f32 v38, |v37|, v38, |v37|
; %bb.12:
	s_or_b64 exec, exec, s[0:1]
	v_mul_f32_e32 v39, 0x3f3504f3, v21
	v_cmp_nlt_f32_e64 s[0:1], |v39|, 1.0
                                        ; implicit-def: $vgpr40
	s_and_saveexec_b64 s[6:7], s[0:1]
	s_xor_b64 s[0:1], exec, s[6:7]
	s_cbranch_execz .LBB4_14
; %bb.13:
	s_mov_b32 s3, 0x378e98ab
	v_mov_b32_e32 v40, 0xb9c68948
	v_fma_f32 v40, |v39|, s3, v40
	s_mov_b32 s3, 0x3b7cd369
	v_fma_f32 v40, |v39|, v40, s3
	s_mov_b32 s3, 0xbcc618b2
	;; [unrolled: 2-line block ×5, first 2 shown]
	v_fma_f32 v40, |v39|, v40, s3
	v_fma_f32 v40, |v39|, v40, |v39|
	s_mov_b32 s3, 0xbfb8aa3b
	v_mul_f32_e32 v41, 0xbfb8aa3b, v40
	v_fma_f32 v42, v40, s3, -v41
	v_rndne_f32_e32 v43, v41
	v_fmamk_f32 v42, v40, 0xb2a5705f, v42
	v_sub_f32_e32 v41, v41, v43
	v_add_f32_e32 v41, v41, v42
	v_exp_f32_e32 v41, v41
	v_cvt_i32_f32_e32 v42, v43
	s_mov_b32 s3, 0x42ce8ed0
	v_cmp_nlt_f32_e32 vcc, s3, v40
	s_mov_b32 s3, 0xc2b17218
	v_ldexp_f32 v41, v41, v42
	v_cndmask_b32_e32 v41, 0, v41, vcc
	v_mov_b32_e32 v42, 0x7f800000
	v_cmp_ngt_f32_e32 vcc, s3, v40
	s_nop 1
	v_cndmask_b32_e32 v40, v42, v41, vcc
	v_sub_f32_e32 v40, 1.0, v40
.LBB4_14:
	s_andn2_saveexec_b64 s[0:1], s[0:1]
; %bb.15:
	v_mul_f32_e32 v40, v39, v39
	v_mov_b32_e32 v41, 0x3ba10414
	v_fmac_f32_e32 v41, 0xba1345e1, v40
	v_fmaak_f32 v41, v40, v41, 0xbcdac9b8
	v_fmaak_f32 v41, v40, v41, 0x3de703be
	v_fmaak_f32 v41, v40, v41, 0xbec09330
	v_fmaak_f32 v40, v40, v41, 0x3e0375d0
	v_fma_f32 v40, |v39|, v40, |v39|
; %bb.16:
	s_or_b64 exec, exec, s[0:1]
	v_mul_f32_e32 v41, 0x3f3504f3, v22
	v_cmp_nlt_f32_e64 s[0:1], |v41|, 1.0
                                        ; implicit-def: $vgpr42
	s_and_saveexec_b64 s[6:7], s[0:1]
	s_xor_b64 s[0:1], exec, s[6:7]
	s_cbranch_execz .LBB4_18
; %bb.17:
	s_mov_b32 s3, 0x378e98ab
	v_mov_b32_e32 v42, 0xb9c68948
	v_fma_f32 v42, |v41|, s3, v42
	s_mov_b32 s3, 0x3b7cd369
	v_fma_f32 v42, |v41|, v42, s3
	s_mov_b32 s3, 0xbcc618b2
	;; [unrolled: 2-line block ×5, first 2 shown]
	v_fma_f32 v42, |v41|, v42, s3
	v_fma_f32 v42, |v41|, v42, |v41|
	s_mov_b32 s3, 0xbfb8aa3b
	v_mul_f32_e32 v43, 0xbfb8aa3b, v42
	v_fma_f32 v44, v42, s3, -v43
	v_rndne_f32_e32 v45, v43
	v_fmamk_f32 v44, v42, 0xb2a5705f, v44
	v_sub_f32_e32 v43, v43, v45
	v_add_f32_e32 v43, v43, v44
	v_exp_f32_e32 v43, v43
	v_cvt_i32_f32_e32 v44, v45
	s_mov_b32 s3, 0x42ce8ed0
	v_cmp_nlt_f32_e32 vcc, s3, v42
	s_mov_b32 s3, 0xc2b17218
	v_ldexp_f32 v43, v43, v44
	v_cndmask_b32_e32 v43, 0, v43, vcc
	v_mov_b32_e32 v44, 0x7f800000
	v_cmp_ngt_f32_e32 vcc, s3, v42
	s_nop 1
	v_cndmask_b32_e32 v42, v44, v43, vcc
	v_sub_f32_e32 v42, 1.0, v42
.LBB4_18:
	s_andn2_saveexec_b64 s[0:1], s[0:1]
; %bb.19:
	v_mul_f32_e32 v42, v41, v41
	v_mov_b32_e32 v43, 0x3ba10414
	v_fmac_f32_e32 v43, 0xba1345e1, v42
	v_fmaak_f32 v43, v42, v43, 0xbcdac9b8
	v_fmaak_f32 v43, v42, v43, 0x3de703be
	v_fmaak_f32 v43, v42, v43, 0xbec09330
	v_fmaak_f32 v42, v42, v43, 0x3e0375d0
	v_fma_f32 v42, |v41|, v42, |v41|
; %bb.20:
	s_or_b64 exec, exec, s[0:1]
	v_mul_f32_e32 v43, 0x3f3504f3, v23
	v_cmp_nlt_f32_e64 s[0:1], |v43|, 1.0
                                        ; implicit-def: $vgpr44
	s_and_saveexec_b64 s[6:7], s[0:1]
	s_xor_b64 s[0:1], exec, s[6:7]
	s_cbranch_execz .LBB4_22
; %bb.21:
	s_mov_b32 s3, 0x378e98ab
	v_mov_b32_e32 v44, 0xb9c68948
	v_fma_f32 v44, |v43|, s3, v44
	s_mov_b32 s3, 0x3b7cd369
	v_fma_f32 v44, |v43|, v44, s3
	s_mov_b32 s3, 0xbcc618b2
	;; [unrolled: 2-line block ×5, first 2 shown]
	v_fma_f32 v44, |v43|, v44, s3
	v_fma_f32 v44, |v43|, v44, |v43|
	s_mov_b32 s3, 0xbfb8aa3b
	v_mul_f32_e32 v45, 0xbfb8aa3b, v44
	v_fma_f32 v46, v44, s3, -v45
	v_rndne_f32_e32 v47, v45
	v_fmamk_f32 v46, v44, 0xb2a5705f, v46
	v_sub_f32_e32 v45, v45, v47
	v_add_f32_e32 v45, v45, v46
	v_exp_f32_e32 v45, v45
	v_cvt_i32_f32_e32 v46, v47
	s_mov_b32 s3, 0x42ce8ed0
	v_cmp_nlt_f32_e32 vcc, s3, v44
	s_mov_b32 s3, 0xc2b17218
	v_ldexp_f32 v45, v45, v46
	v_cndmask_b32_e32 v45, 0, v45, vcc
	v_mov_b32_e32 v46, 0x7f800000
	v_cmp_ngt_f32_e32 vcc, s3, v44
	s_nop 1
	v_cndmask_b32_e32 v44, v46, v45, vcc
	v_sub_f32_e32 v44, 1.0, v44
.LBB4_22:
	s_andn2_saveexec_b64 s[0:1], s[0:1]
; %bb.23:
	v_mul_f32_e32 v44, v43, v43
	v_mov_b32_e32 v45, 0x3ba10414
	v_fmac_f32_e32 v45, 0xba1345e1, v44
	v_fmaak_f32 v45, v44, v45, 0xbcdac9b8
	v_fmaak_f32 v45, v44, v45, 0x3de703be
	;; [unrolled: 1-line block ×4, first 2 shown]
	v_fma_f32 v44, |v43|, v44, |v43|
; %bb.24:
	s_or_b64 exec, exec, s[0:1]
	v_mul_f32_e32 v45, 0x3f3504f3, v24
	v_cmp_nlt_f32_e64 s[0:1], |v45|, 1.0
                                        ; implicit-def: $vgpr46
	s_and_saveexec_b64 s[6:7], s[0:1]
	s_xor_b64 s[0:1], exec, s[6:7]
	s_cbranch_execz .LBB4_26
; %bb.25:
	s_mov_b32 s3, 0x378e98ab
	v_mov_b32_e32 v46, 0xb9c68948
	v_fma_f32 v46, |v45|, s3, v46
	s_mov_b32 s3, 0x3b7cd369
	v_fma_f32 v46, |v45|, v46, s3
	s_mov_b32 s3, 0xbcc618b2
	;; [unrolled: 2-line block ×5, first 2 shown]
	v_fma_f32 v46, |v45|, v46, s3
	v_fma_f32 v46, |v45|, v46, |v45|
	s_mov_b32 s3, 0xbfb8aa3b
	v_mul_f32_e32 v47, 0xbfb8aa3b, v46
	v_fma_f32 v48, v46, s3, -v47
	v_rndne_f32_e32 v49, v47
	v_fmamk_f32 v48, v46, 0xb2a5705f, v48
	v_sub_f32_e32 v47, v47, v49
	v_add_f32_e32 v47, v47, v48
	v_exp_f32_e32 v47, v47
	v_cvt_i32_f32_e32 v48, v49
	s_mov_b32 s3, 0x42ce8ed0
	v_cmp_nlt_f32_e32 vcc, s3, v46
	s_mov_b32 s3, 0xc2b17218
	v_ldexp_f32 v47, v47, v48
	v_cndmask_b32_e32 v47, 0, v47, vcc
	v_mov_b32_e32 v48, 0x7f800000
	v_cmp_ngt_f32_e32 vcc, s3, v46
	s_nop 1
	v_cndmask_b32_e32 v46, v48, v47, vcc
	v_sub_f32_e32 v46, 1.0, v46
.LBB4_26:
	s_andn2_saveexec_b64 s[0:1], s[0:1]
; %bb.27:
	v_mul_f32_e32 v46, v45, v45
	v_mov_b32_e32 v47, 0x3ba10414
	v_fmac_f32_e32 v47, 0xba1345e1, v46
	v_fmaak_f32 v47, v46, v47, 0xbcdac9b8
	v_fmaak_f32 v47, v46, v47, 0x3de703be
	;; [unrolled: 1-line block ×4, first 2 shown]
	v_fma_f32 v46, |v45|, v46, |v45|
; %bb.28:
	s_or_b64 exec, exec, s[0:1]
	v_mul_f32_e32 v47, 0x3f3504f3, v25
	v_cmp_nlt_f32_e64 s[0:1], |v47|, 1.0
                                        ; implicit-def: $vgpr48
	s_and_saveexec_b64 s[6:7], s[0:1]
	s_xor_b64 s[0:1], exec, s[6:7]
	s_cbranch_execz .LBB4_30
; %bb.29:
	s_mov_b32 s3, 0x378e98ab
	v_mov_b32_e32 v48, 0xb9c68948
	v_fma_f32 v48, |v47|, s3, v48
	s_mov_b32 s3, 0x3b7cd369
	v_fma_f32 v48, |v47|, v48, s3
	s_mov_b32 s3, 0xbcc618b2
	;; [unrolled: 2-line block ×5, first 2 shown]
	v_fma_f32 v48, |v47|, v48, s3
	v_fma_f32 v48, |v47|, v48, |v47|
	s_mov_b32 s3, 0xbfb8aa3b
	v_mul_f32_e32 v49, 0xbfb8aa3b, v48
	v_fma_f32 v50, v48, s3, -v49
	v_rndne_f32_e32 v51, v49
	v_fmamk_f32 v50, v48, 0xb2a5705f, v50
	v_sub_f32_e32 v49, v49, v51
	v_add_f32_e32 v49, v49, v50
	v_exp_f32_e32 v49, v49
	v_cvt_i32_f32_e32 v50, v51
	s_mov_b32 s3, 0x42ce8ed0
	v_cmp_nlt_f32_e32 vcc, s3, v48
	s_mov_b32 s3, 0xc2b17218
	v_ldexp_f32 v49, v49, v50
	v_cndmask_b32_e32 v49, 0, v49, vcc
	v_mov_b32_e32 v50, 0x7f800000
	v_cmp_ngt_f32_e32 vcc, s3, v48
	s_nop 1
	v_cndmask_b32_e32 v48, v50, v49, vcc
	v_sub_f32_e32 v48, 1.0, v48
.LBB4_30:
	s_andn2_saveexec_b64 s[0:1], s[0:1]
; %bb.31:
	v_mul_f32_e32 v48, v47, v47
	v_mov_b32_e32 v49, 0x3ba10414
	v_fmac_f32_e32 v49, 0xba1345e1, v48
	v_fmaak_f32 v49, v48, v49, 0xbcdac9b8
	v_fmaak_f32 v49, v48, v49, 0x3de703be
	;; [unrolled: 1-line block ×4, first 2 shown]
	v_fma_f32 v48, |v47|, v48, |v47|
; %bb.32:
	s_or_b64 exec, exec, s[0:1]
	s_waitcnt vmcnt(2)
	v_mul_f32_e32 v49, 0x3f3504f3, v26
	v_cmp_nlt_f32_e64 s[0:1], |v49|, 1.0
                                        ; implicit-def: $vgpr50
	s_and_saveexec_b64 s[6:7], s[0:1]
	s_xor_b64 s[0:1], exec, s[6:7]
	s_cbranch_execz .LBB4_34
; %bb.33:
	s_mov_b32 s3, 0x378e98ab
	v_mov_b32_e32 v50, 0xb9c68948
	v_fma_f32 v50, |v49|, s3, v50
	s_mov_b32 s3, 0x3b7cd369
	v_fma_f32 v50, |v49|, v50, s3
	s_mov_b32 s3, 0xbcc618b2
	;; [unrolled: 2-line block ×5, first 2 shown]
	v_fma_f32 v50, |v49|, v50, s3
	v_fma_f32 v50, |v49|, v50, |v49|
	s_mov_b32 s3, 0xbfb8aa3b
	v_mul_f32_e32 v51, 0xbfb8aa3b, v50
	v_fma_f32 v52, v50, s3, -v51
	v_rndne_f32_e32 v53, v51
	v_fmamk_f32 v52, v50, 0xb2a5705f, v52
	v_sub_f32_e32 v51, v51, v53
	v_add_f32_e32 v51, v51, v52
	v_exp_f32_e32 v51, v51
	v_cvt_i32_f32_e32 v52, v53
	s_mov_b32 s3, 0x42ce8ed0
	v_cmp_nlt_f32_e32 vcc, s3, v50
	s_mov_b32 s3, 0xc2b17218
	v_ldexp_f32 v51, v51, v52
	v_cndmask_b32_e32 v51, 0, v51, vcc
	v_mov_b32_e32 v52, 0x7f800000
	v_cmp_ngt_f32_e32 vcc, s3, v50
	s_nop 1
	v_cndmask_b32_e32 v50, v52, v51, vcc
	v_sub_f32_e32 v50, 1.0, v50
.LBB4_34:
	s_andn2_saveexec_b64 s[0:1], s[0:1]
; %bb.35:
	v_mul_f32_e32 v50, v49, v49
	v_mov_b32_e32 v51, 0x3ba10414
	v_fmac_f32_e32 v51, 0xba1345e1, v50
	v_fmaak_f32 v51, v50, v51, 0xbcdac9b8
	v_fmaak_f32 v51, v50, v51, 0x3de703be
	;; [unrolled: 1-line block ×4, first 2 shown]
	v_fma_f32 v50, |v49|, v50, |v49|
; %bb.36:
	s_or_b64 exec, exec, s[0:1]
	v_mul_f32_e32 v51, 0x3f3504f3, v27
	v_cmp_nlt_f32_e64 s[0:1], |v51|, 1.0
                                        ; implicit-def: $vgpr52
	s_and_saveexec_b64 s[6:7], s[0:1]
	s_xor_b64 s[0:1], exec, s[6:7]
	s_cbranch_execz .LBB4_38
; %bb.37:
	s_mov_b32 s3, 0x378e98ab
	v_mov_b32_e32 v52, 0xb9c68948
	v_fma_f32 v52, |v51|, s3, v52
	s_mov_b32 s3, 0x3b7cd369
	v_fma_f32 v52, |v51|, v52, s3
	s_mov_b32 s3, 0xbcc618b2
	;; [unrolled: 2-line block ×5, first 2 shown]
	v_fma_f32 v52, |v51|, v52, s3
	v_fma_f32 v52, |v51|, v52, |v51|
	s_mov_b32 s3, 0xbfb8aa3b
	v_mul_f32_e32 v53, 0xbfb8aa3b, v52
	v_fma_f32 v54, v52, s3, -v53
	v_rndne_f32_e32 v55, v53
	v_fmamk_f32 v54, v52, 0xb2a5705f, v54
	v_sub_f32_e32 v53, v53, v55
	v_add_f32_e32 v53, v53, v54
	v_exp_f32_e32 v53, v53
	v_cvt_i32_f32_e32 v54, v55
	s_mov_b32 s3, 0x42ce8ed0
	v_cmp_nlt_f32_e32 vcc, s3, v52
	s_mov_b32 s3, 0xc2b17218
	v_ldexp_f32 v53, v53, v54
	v_cndmask_b32_e32 v53, 0, v53, vcc
	v_mov_b32_e32 v54, 0x7f800000
	v_cmp_ngt_f32_e32 vcc, s3, v52
	s_nop 1
	v_cndmask_b32_e32 v52, v54, v53, vcc
	v_sub_f32_e32 v52, 1.0, v52
.LBB4_38:
	s_andn2_saveexec_b64 s[0:1], s[0:1]
; %bb.39:
	v_mul_f32_e32 v52, v51, v51
	v_mov_b32_e32 v53, 0x3ba10414
	v_fmac_f32_e32 v53, 0xba1345e1, v52
	v_fmaak_f32 v53, v52, v53, 0xbcdac9b8
	v_fmaak_f32 v53, v52, v53, 0x3de703be
	;; [unrolled: 1-line block ×4, first 2 shown]
	v_fma_f32 v52, |v51|, v52, |v51|
; %bb.40:
	s_or_b64 exec, exec, s[0:1]
	v_mul_f32_e32 v53, 0x3f3504f3, v28
	v_cmp_nlt_f32_e64 s[0:1], |v53|, 1.0
                                        ; implicit-def: $vgpr54
	s_and_saveexec_b64 s[6:7], s[0:1]
	s_xor_b64 s[0:1], exec, s[6:7]
	s_cbranch_execz .LBB4_42
; %bb.41:
	s_mov_b32 s3, 0x378e98ab
	v_mov_b32_e32 v54, 0xb9c68948
	v_fma_f32 v54, |v53|, s3, v54
	s_mov_b32 s3, 0x3b7cd369
	v_fma_f32 v54, |v53|, v54, s3
	s_mov_b32 s3, 0xbcc618b2
	;; [unrolled: 2-line block ×5, first 2 shown]
	v_fma_f32 v54, |v53|, v54, s3
	v_fma_f32 v54, |v53|, v54, |v53|
	s_mov_b32 s3, 0xbfb8aa3b
	v_mul_f32_e32 v55, 0xbfb8aa3b, v54
	v_fma_f32 v56, v54, s3, -v55
	v_rndne_f32_e32 v57, v55
	v_fmamk_f32 v56, v54, 0xb2a5705f, v56
	v_sub_f32_e32 v55, v55, v57
	v_add_f32_e32 v55, v55, v56
	v_exp_f32_e32 v55, v55
	v_cvt_i32_f32_e32 v56, v57
	s_mov_b32 s3, 0x42ce8ed0
	v_cmp_nlt_f32_e32 vcc, s3, v54
	s_mov_b32 s3, 0xc2b17218
	v_ldexp_f32 v55, v55, v56
	v_cndmask_b32_e32 v55, 0, v55, vcc
	v_mov_b32_e32 v56, 0x7f800000
	v_cmp_ngt_f32_e32 vcc, s3, v54
	s_nop 1
	v_cndmask_b32_e32 v54, v56, v55, vcc
	v_sub_f32_e32 v54, 1.0, v54
.LBB4_42:
	s_andn2_saveexec_b64 s[0:1], s[0:1]
; %bb.43:
	v_mul_f32_e32 v54, v53, v53
	v_mov_b32_e32 v55, 0x3ba10414
	v_fmac_f32_e32 v55, 0xba1345e1, v54
	v_fmaak_f32 v55, v54, v55, 0xbcdac9b8
	v_fmaak_f32 v55, v54, v55, 0x3de703be
	v_fmaak_f32 v55, v54, v55, 0xbec09330
	v_fmaak_f32 v54, v54, v55, 0x3e0375d0
	v_fma_f32 v54, |v53|, v54, |v53|
; %bb.44:
	s_or_b64 exec, exec, s[0:1]
	v_mul_f32_e32 v55, 0x3f3504f3, v29
	v_cmp_nlt_f32_e64 s[0:1], |v55|, 1.0
                                        ; implicit-def: $vgpr56
	s_and_saveexec_b64 s[6:7], s[0:1]
	s_xor_b64 s[0:1], exec, s[6:7]
	s_cbranch_execz .LBB4_46
; %bb.45:
	s_mov_b32 s3, 0x378e98ab
	v_mov_b32_e32 v56, 0xb9c68948
	v_fma_f32 v56, |v55|, s3, v56
	s_mov_b32 s3, 0x3b7cd369
	v_fma_f32 v56, |v55|, v56, s3
	s_mov_b32 s3, 0xbcc618b2
	;; [unrolled: 2-line block ×5, first 2 shown]
	v_fma_f32 v56, |v55|, v56, s3
	v_fma_f32 v56, |v55|, v56, |v55|
	s_mov_b32 s3, 0xbfb8aa3b
	v_mul_f32_e32 v57, 0xbfb8aa3b, v56
	v_fma_f32 v58, v56, s3, -v57
	v_rndne_f32_e32 v59, v57
	v_fmamk_f32 v58, v56, 0xb2a5705f, v58
	v_sub_f32_e32 v57, v57, v59
	v_add_f32_e32 v57, v57, v58
	v_exp_f32_e32 v57, v57
	v_cvt_i32_f32_e32 v58, v59
	s_mov_b32 s3, 0x42ce8ed0
	v_cmp_nlt_f32_e32 vcc, s3, v56
	s_mov_b32 s3, 0xc2b17218
	v_ldexp_f32 v57, v57, v58
	v_cndmask_b32_e32 v57, 0, v57, vcc
	v_mov_b32_e32 v58, 0x7f800000
	v_cmp_ngt_f32_e32 vcc, s3, v56
	s_nop 1
	v_cndmask_b32_e32 v56, v58, v57, vcc
	v_sub_f32_e32 v56, 1.0, v56
.LBB4_46:
	s_andn2_saveexec_b64 s[0:1], s[0:1]
; %bb.47:
	v_mul_f32_e32 v56, v55, v55
	v_mov_b32_e32 v57, 0x3ba10414
	v_fmac_f32_e32 v57, 0xba1345e1, v56
	v_fmaak_f32 v57, v56, v57, 0xbcdac9b8
	v_fmaak_f32 v57, v56, v57, 0x3de703be
	;; [unrolled: 1-line block ×4, first 2 shown]
	v_fma_f32 v56, |v55|, v56, |v55|
; %bb.48:
	s_or_b64 exec, exec, s[0:1]
	s_waitcnt vmcnt(0)
	v_mul_f32_e32 v57, 0x3f3504f3, v30
	v_cmp_nlt_f32_e64 s[0:1], |v57|, 1.0
                                        ; implicit-def: $vgpr58
	s_and_saveexec_b64 s[6:7], s[0:1]
	s_xor_b64 s[0:1], exec, s[6:7]
	s_cbranch_execz .LBB4_50
; %bb.49:
	s_mov_b32 s3, 0x378e98ab
	v_mov_b32_e32 v58, 0xb9c68948
	v_fma_f32 v58, |v57|, s3, v58
	s_mov_b32 s3, 0x3b7cd369
	v_fma_f32 v58, |v57|, v58, s3
	s_mov_b32 s3, 0xbcc618b2
	;; [unrolled: 2-line block ×5, first 2 shown]
	v_fma_f32 v58, |v57|, v58, s3
	v_fma_f32 v58, |v57|, v58, |v57|
	s_mov_b32 s3, 0xbfb8aa3b
	v_mul_f32_e32 v59, 0xbfb8aa3b, v58
	v_fma_f32 v60, v58, s3, -v59
	v_rndne_f32_e32 v61, v59
	v_fmamk_f32 v60, v58, 0xb2a5705f, v60
	v_sub_f32_e32 v59, v59, v61
	v_add_f32_e32 v59, v59, v60
	v_exp_f32_e32 v59, v59
	v_cvt_i32_f32_e32 v60, v61
	s_mov_b32 s3, 0x42ce8ed0
	v_cmp_nlt_f32_e32 vcc, s3, v58
	s_mov_b32 s3, 0xc2b17218
	v_ldexp_f32 v59, v59, v60
	v_cndmask_b32_e32 v59, 0, v59, vcc
	v_mov_b32_e32 v60, 0x7f800000
	v_cmp_ngt_f32_e32 vcc, s3, v58
	s_nop 1
	v_cndmask_b32_e32 v58, v60, v59, vcc
	v_sub_f32_e32 v58, 1.0, v58
.LBB4_50:
	s_andn2_saveexec_b64 s[0:1], s[0:1]
; %bb.51:
	v_mul_f32_e32 v58, v57, v57
	v_mov_b32_e32 v59, 0x3ba10414
	v_fmac_f32_e32 v59, 0xba1345e1, v58
	v_fmaak_f32 v59, v58, v59, 0xbcdac9b8
	v_fmaak_f32 v59, v58, v59, 0x3de703be
	v_fmaak_f32 v59, v58, v59, 0xbec09330
	v_fmaak_f32 v58, v58, v59, 0x3e0375d0
	v_fma_f32 v58, |v57|, v58, |v57|
; %bb.52:
	s_or_b64 exec, exec, s[0:1]
	v_mul_f32_e32 v59, 0x3f3504f3, v31
	v_cmp_nlt_f32_e64 s[0:1], |v59|, 1.0
                                        ; implicit-def: $vgpr60
	s_and_saveexec_b64 s[6:7], s[0:1]
	s_xor_b64 s[0:1], exec, s[6:7]
	s_cbranch_execz .LBB4_54
; %bb.53:
	s_mov_b32 s3, 0x378e98ab
	v_mov_b32_e32 v60, 0xb9c68948
	v_fma_f32 v60, |v59|, s3, v60
	s_mov_b32 s3, 0x3b7cd369
	v_fma_f32 v60, |v59|, v60, s3
	s_mov_b32 s3, 0xbcc618b2
	v_fma_f32 v60, |v59|, v60, s3
	s_mov_b32 s3, 0x3dda74e4
	v_fma_f32 v60, |v59|, v60, s3
	s_mov_b32 s3, 0x3f228afd
	v_fma_f32 v60, |v59|, v60, s3
	s_mov_b32 s3, 0x3e03c728
	v_fma_f32 v60, |v59|, v60, s3
	v_fma_f32 v60, |v59|, v60, |v59|
	s_mov_b32 s3, 0xbfb8aa3b
	v_mul_f32_e32 v61, 0xbfb8aa3b, v60
	v_fma_f32 v62, v60, s3, -v61
	v_rndne_f32_e32 v63, v61
	v_fmamk_f32 v62, v60, 0xb2a5705f, v62
	v_sub_f32_e32 v61, v61, v63
	v_add_f32_e32 v61, v61, v62
	v_exp_f32_e32 v61, v61
	v_cvt_i32_f32_e32 v62, v63
	s_mov_b32 s3, 0x42ce8ed0
	v_cmp_nlt_f32_e32 vcc, s3, v60
	s_mov_b32 s3, 0xc2b17218
	v_ldexp_f32 v61, v61, v62
	v_cndmask_b32_e32 v61, 0, v61, vcc
	v_mov_b32_e32 v62, 0x7f800000
	v_cmp_ngt_f32_e32 vcc, s3, v60
	s_nop 1
	v_cndmask_b32_e32 v60, v62, v61, vcc
	v_sub_f32_e32 v60, 1.0, v60
.LBB4_54:
	s_andn2_saveexec_b64 s[0:1], s[0:1]
; %bb.55:
	v_mul_f32_e32 v60, v59, v59
	v_mov_b32_e32 v61, 0x3ba10414
	v_fmac_f32_e32 v61, 0xba1345e1, v60
	v_fmaak_f32 v61, v60, v61, 0xbcdac9b8
	v_fmaak_f32 v61, v60, v61, 0x3de703be
	;; [unrolled: 1-line block ×4, first 2 shown]
	v_fma_f32 v60, |v59|, v60, |v59|
; %bb.56:
	s_or_b64 exec, exec, s[0:1]
	v_mul_f32_e32 v61, 0x3f3504f3, v32
	v_cmp_nlt_f32_e64 s[0:1], |v61|, 1.0
                                        ; implicit-def: $vgpr62
	s_and_saveexec_b64 s[6:7], s[0:1]
	s_xor_b64 s[0:1], exec, s[6:7]
	s_cbranch_execz .LBB4_58
; %bb.57:
	s_mov_b32 s3, 0x378e98ab
	v_mov_b32_e32 v62, 0xb9c68948
	v_fma_f32 v62, |v61|, s3, v62
	s_mov_b32 s3, 0x3b7cd369
	v_fma_f32 v62, |v61|, v62, s3
	s_mov_b32 s3, 0xbcc618b2
	;; [unrolled: 2-line block ×5, first 2 shown]
	v_fma_f32 v62, |v61|, v62, s3
	v_fma_f32 v62, |v61|, v62, |v61|
	s_mov_b32 s3, 0xbfb8aa3b
	v_mul_f32_e32 v63, 0xbfb8aa3b, v62
	v_fma_f32 v64, v62, s3, -v63
	v_rndne_f32_e32 v65, v63
	v_fmamk_f32 v64, v62, 0xb2a5705f, v64
	v_sub_f32_e32 v63, v63, v65
	v_add_f32_e32 v63, v63, v64
	v_exp_f32_e32 v63, v63
	v_cvt_i32_f32_e32 v64, v65
	s_mov_b32 s3, 0x42ce8ed0
	v_cmp_nlt_f32_e32 vcc, s3, v62
	s_mov_b32 s3, 0xc2b17218
	v_ldexp_f32 v63, v63, v64
	v_cndmask_b32_e32 v63, 0, v63, vcc
	v_mov_b32_e32 v64, 0x7f800000
	v_cmp_ngt_f32_e32 vcc, s3, v62
	s_nop 1
	v_cndmask_b32_e32 v62, v64, v63, vcc
	v_sub_f32_e32 v62, 1.0, v62
.LBB4_58:
	s_andn2_saveexec_b64 s[0:1], s[0:1]
; %bb.59:
	v_mul_f32_e32 v62, v61, v61
	v_mov_b32_e32 v63, 0x3ba10414
	v_fmac_f32_e32 v63, 0xba1345e1, v62
	v_fmaak_f32 v63, v62, v63, 0xbcdac9b8
	v_fmaak_f32 v63, v62, v63, 0x3de703be
	v_fmaak_f32 v63, v62, v63, 0xbec09330
	v_fmaak_f32 v62, v62, v63, 0x3e0375d0
	v_fma_f32 v62, |v61|, v62, |v61|
; %bb.60:
	s_or_b64 exec, exec, s[0:1]
	v_mul_f32_e32 v63, 0x3f3504f3, v33
	v_lshlrev_b32_e32 v0, 3, v0
	v_cmp_nlt_f32_e64 s[0:1], |v63|, 1.0
                                        ; implicit-def: $vgpr64
	s_and_saveexec_b64 s[6:7], s[0:1]
	s_xor_b64 s[0:1], exec, s[6:7]
	s_cbranch_execz .LBB4_62
; %bb.61:
	s_mov_b32 s3, 0x378e98ab
	v_mov_b32_e32 v64, 0xb9c68948
	v_fma_f32 v64, |v63|, s3, v64
	s_mov_b32 s3, 0x3b7cd369
	v_fma_f32 v64, |v63|, v64, s3
	s_mov_b32 s3, 0xbcc618b2
	;; [unrolled: 2-line block ×5, first 2 shown]
	v_fma_f32 v64, |v63|, v64, s3
	v_fma_f32 v64, |v63|, v64, |v63|
	s_mov_b32 s3, 0xbfb8aa3b
	v_mul_f32_e32 v65, 0xbfb8aa3b, v64
	v_fma_f32 v66, v64, s3, -v65
	v_rndne_f32_e32 v67, v65
	v_fmamk_f32 v66, v64, 0xb2a5705f, v66
	v_sub_f32_e32 v65, v65, v67
	v_add_f32_e32 v65, v65, v66
	v_exp_f32_e32 v65, v65
	v_cvt_i32_f32_e32 v66, v67
	s_mov_b32 s3, 0x42ce8ed0
	v_cmp_nlt_f32_e32 vcc, s3, v64
	s_mov_b32 s3, 0xc2b17218
	v_ldexp_f32 v65, v65, v66
	v_cndmask_b32_e32 v65, 0, v65, vcc
	v_mov_b32_e32 v66, 0x7f800000
	v_cmp_ngt_f32_e32 vcc, s3, v64
	s_nop 1
	v_cndmask_b32_e32 v64, v66, v65, vcc
	v_sub_f32_e32 v64, 1.0, v64
.LBB4_62:
	s_andn2_saveexec_b64 s[0:1], s[0:1]
; %bb.63:
	v_mul_f32_e32 v64, v63, v63
	v_mov_b32_e32 v65, 0x3ba10414
	v_fmac_f32_e32 v65, 0xba1345e1, v64
	v_fmaak_f32 v65, v64, v65, 0xbcdac9b8
	v_fmaak_f32 v65, v64, v65, 0x3de703be
	;; [unrolled: 1-line block ×4, first 2 shown]
	v_fma_f32 v64, |v63|, v64, |v63|
; %bb.64:
	s_or_b64 exec, exec, s[0:1]
	s_brev_b32 s0, -2
	v_bfi_b32 v35, s0, v36, v35
	v_bfi_b32 v34, s0, v34, v1
	v_pk_mul_f32 v[18:19], v[18:19], 0.5 op_sel_hi:[1,0]
	v_pk_add_f32 v[34:35], v[34:35], 1.0 op_sel_hi:[1,0]
	v_bfi_b32 v63, s0, v64, v63
	v_bfi_b32 v62, s0, v62, v61
	;; [unrolled: 1-line block ×14, first 2 shown]
	s_and_b32 s0, s2, 0x7fffffff
	v_pk_mul_f32 v[18:19], v[18:19], v[34:35]
	v_pk_mul_f32 v[20:21], v[20:21], 0.5 op_sel_hi:[1,0]
	s_mul_hi_u32 s1, s0, 0x2800
	s_mulk_i32 s0, 0x2800
	v_pk_mul_f32 v[14:15], v[14:15], v[18:19]
	v_pk_add_f32 v[18:19], v[38:39], 1.0 op_sel_hi:[1,0]
	s_add_u32 s0, s4, s0
	v_pk_mul_f32 v[18:19], v[20:21], v[18:19]
	s_addc_u32 s1, s5, s1
	v_lshlrev_b32_e32 v0, 2, v0
	v_pk_mul_f32 v[16:17], v[16:17], v[18:19]
	v_pk_mul_f32 v[22:23], v[22:23], 0.5 op_sel_hi:[1,0]
	global_store_dwordx4 v0, v[14:17], s[0:1]
	v_pk_mul_f32 v[24:25], v[24:25], 0.5 op_sel_hi:[1,0]
	v_mov_b32_e32 v1, 0
	v_pk_add_f32 v[14:15], v[42:43], 1.0 op_sel_hi:[1,0]
	v_pk_mul_f32 v[26:27], v[26:27], 0.5 op_sel_hi:[1,0]
	v_pk_mul_f32 v[14:15], v[22:23], v[14:15]
	v_lshl_add_u64 v[36:37], s[0:1], 0, v[0:1]
	v_pk_mul_f32 v[6:7], v[6:7], v[14:15]
	v_pk_add_f32 v[14:15], v[46:47], 1.0 op_sel_hi:[1,0]
	v_pk_mul_f32 v[28:29], v[28:29], 0.5 op_sel_hi:[1,0]
	v_pk_mul_f32 v[14:15], v[24:25], v[14:15]
	v_pk_mul_f32 v[30:31], v[30:31], 0.5 op_sel_hi:[1,0]
	v_pk_mul_f32 v[8:9], v[8:9], v[14:15]
	global_store_dwordx4 v0, v[6:9], s[0:1] offset:16
	v_pk_add_f32 v[0:1], v[50:51], 1.0 op_sel_hi:[1,0]
	s_mov_b64 s[0:1], 0x1400
	v_pk_mul_f32 v[0:1], v[26:27], v[0:1]
	v_lshl_add_u64 v[14:15], v[36:37], 0, s[0:1]
	v_pk_mul_f32 v[6:7], v[10:11], v[0:1]
	v_pk_add_f32 v[0:1], v[54:55], 1.0 op_sel_hi:[1,0]
	s_movk_i32 s0, 0x1000
	v_pk_mul_f32 v[0:1], v[28:29], v[0:1]
	v_pk_mul_f32 v[32:33], v[32:33], 0.5 op_sel_hi:[1,0]
	v_pk_mul_f32 v[8:9], v[12:13], v[0:1]
	v_add_co_u32_e32 v0, vcc, s0, v36
	s_nop 1
	v_addc_co_u32_e32 v1, vcc, 0, v37, vcc
	global_store_dwordx4 v[0:1], v[6:9], off offset:1024
	v_pk_add_f32 v[0:1], v[58:59], 1.0 op_sel_hi:[1,0]
	s_nop 0
	v_pk_mul_f32 v[0:1], v[30:31], v[0:1]
	s_nop 0
	v_pk_mul_f32 v[0:1], v[2:3], v[0:1]
	v_pk_add_f32 v[2:3], v[62:63], 1.0 op_sel_hi:[1,0]
	s_nop 0
	v_pk_mul_f32 v[2:3], v[32:33], v[2:3]
	s_nop 0
	v_pk_mul_f32 v[2:3], v[4:5], v[2:3]
	global_store_dwordx4 v[14:15], v[0:3], off offset:16
	s_endpgm
	.section	.rodata,"a",@progbits
	.p2align	6, 0x0
	.amdhsa_kernel _Z12geglu_kernelIffLi160ELi2560ELi8ELi2EEvPT_PKS0_
		.amdhsa_group_segment_fixed_size 0
		.amdhsa_private_segment_fixed_size 0
		.amdhsa_kernarg_size 16
		.amdhsa_user_sgpr_count 2
		.amdhsa_user_sgpr_dispatch_ptr 0
		.amdhsa_user_sgpr_queue_ptr 0
		.amdhsa_user_sgpr_kernarg_segment_ptr 1
		.amdhsa_user_sgpr_dispatch_id 0
		.amdhsa_user_sgpr_kernarg_preload_length 0
		.amdhsa_user_sgpr_kernarg_preload_offset 0
		.amdhsa_user_sgpr_private_segment_size 0
		.amdhsa_uses_dynamic_stack 0
		.amdhsa_enable_private_segment 0
		.amdhsa_system_sgpr_workgroup_id_x 1
		.amdhsa_system_sgpr_workgroup_id_y 0
		.amdhsa_system_sgpr_workgroup_id_z 0
		.amdhsa_system_sgpr_workgroup_info 0
		.amdhsa_system_vgpr_workitem_id 0
		.amdhsa_next_free_vgpr 68
		.amdhsa_next_free_sgpr 9
		.amdhsa_accum_offset 68
		.amdhsa_reserve_vcc 1
		.amdhsa_float_round_mode_32 0
		.amdhsa_float_round_mode_16_64 0
		.amdhsa_float_denorm_mode_32 3
		.amdhsa_float_denorm_mode_16_64 3
		.amdhsa_dx10_clamp 1
		.amdhsa_ieee_mode 1
		.amdhsa_fp16_overflow 0
		.amdhsa_tg_split 0
		.amdhsa_exception_fp_ieee_invalid_op 0
		.amdhsa_exception_fp_denorm_src 0
		.amdhsa_exception_fp_ieee_div_zero 0
		.amdhsa_exception_fp_ieee_overflow 0
		.amdhsa_exception_fp_ieee_underflow 0
		.amdhsa_exception_fp_ieee_inexact 0
		.amdhsa_exception_int_div_zero 0
	.end_amdhsa_kernel
	.section	.text._Z12geglu_kernelIffLi160ELi2560ELi8ELi2EEvPT_PKS0_,"axG",@progbits,_Z12geglu_kernelIffLi160ELi2560ELi8ELi2EEvPT_PKS0_,comdat
.Lfunc_end4:
	.size	_Z12geglu_kernelIffLi160ELi2560ELi8ELi2EEvPT_PKS0_, .Lfunc_end4-_Z12geglu_kernelIffLi160ELi2560ELi8ELi2EEvPT_PKS0_
                                        ; -- End function
	.set _Z12geglu_kernelIffLi160ELi2560ELi8ELi2EEvPT_PKS0_.num_vgpr, 68
	.set _Z12geglu_kernelIffLi160ELi2560ELi8ELi2EEvPT_PKS0_.num_agpr, 0
	.set _Z12geglu_kernelIffLi160ELi2560ELi8ELi2EEvPT_PKS0_.numbered_sgpr, 9
	.set _Z12geglu_kernelIffLi160ELi2560ELi8ELi2EEvPT_PKS0_.num_named_barrier, 0
	.set _Z12geglu_kernelIffLi160ELi2560ELi8ELi2EEvPT_PKS0_.private_seg_size, 0
	.set _Z12geglu_kernelIffLi160ELi2560ELi8ELi2EEvPT_PKS0_.uses_vcc, 1
	.set _Z12geglu_kernelIffLi160ELi2560ELi8ELi2EEvPT_PKS0_.uses_flat_scratch, 0
	.set _Z12geglu_kernelIffLi160ELi2560ELi8ELi2EEvPT_PKS0_.has_dyn_sized_stack, 0
	.set _Z12geglu_kernelIffLi160ELi2560ELi8ELi2EEvPT_PKS0_.has_recursion, 0
	.set _Z12geglu_kernelIffLi160ELi2560ELi8ELi2EEvPT_PKS0_.has_indirect_call, 0
	.section	.AMDGPU.csdata,"",@progbits
; Kernel info:
; codeLenInByte = 5792
; TotalNumSgprs: 15
; NumVgprs: 68
; NumAgprs: 0
; TotalNumVgprs: 68
; ScratchSize: 0
; MemoryBound: 0
; FloatMode: 240
; IeeeMode: 1
; LDSByteSize: 0 bytes/workgroup (compile time only)
; SGPRBlocks: 1
; VGPRBlocks: 8
; NumSGPRsForWavesPerEU: 15
; NumVGPRsForWavesPerEU: 68
; AccumOffset: 68
; Occupancy: 7
; WaveLimiterHint : 1
; COMPUTE_PGM_RSRC2:SCRATCH_EN: 0
; COMPUTE_PGM_RSRC2:USER_SGPR: 2
; COMPUTE_PGM_RSRC2:TRAP_HANDLER: 0
; COMPUTE_PGM_RSRC2:TGID_X_EN: 1
; COMPUTE_PGM_RSRC2:TGID_Y_EN: 0
; COMPUTE_PGM_RSRC2:TGID_Z_EN: 0
; COMPUTE_PGM_RSRC2:TIDIG_COMP_CNT: 0
; COMPUTE_PGM_RSRC3_GFX90A:ACCUM_OFFSET: 16
; COMPUTE_PGM_RSRC3_GFX90A:TG_SPLIT: 0
	.section	.text._Z12geglu_kernelIffLi160ELi5120ELi8ELi2EEvPT_PKS0_,"axG",@progbits,_Z12geglu_kernelIffLi160ELi5120ELi8ELi2EEvPT_PKS0_,comdat
	.protected	_Z12geglu_kernelIffLi160ELi5120ELi8ELi2EEvPT_PKS0_ ; -- Begin function _Z12geglu_kernelIffLi160ELi5120ELi8ELi2EEvPT_PKS0_
	.globl	_Z12geglu_kernelIffLi160ELi5120ELi8ELi2EEvPT_PKS0_
	.p2align	8
	.type	_Z12geglu_kernelIffLi160ELi5120ELi8ELi2EEvPT_PKS0_,@function
_Z12geglu_kernelIffLi160ELi5120ELi8ELi2EEvPT_PKS0_: ; @_Z12geglu_kernelIffLi160ELi5120ELi8ELi2EEvPT_PKS0_
; %bb.0:
	s_load_dwordx4 s[4:7], s[0:1], 0x0
	s_and_b32 s3, s2, 0x7ffffffe
	s_lshl_b32 s0, s2, 1
	s_and_b32 s8, s0, 2
	s_mul_i32 s0, s3, 0x5000
	s_mul_hi_u32 s1, s3, 0x5000
	s_waitcnt lgkmcnt(0)
	s_add_u32 s0, s6, s0
	s_addc_u32 s1, s7, s1
	s_or_b32 s3, s3, 1
	s_mulk_i32 s8, 0xa0
	s_mul_hi_u32 s9, s3, 0x5000
	s_mulk_i32 s3, 0x5000
	v_add_u32_e32 v0, s8, v0
	s_add_u32 s6, s6, s3
	v_lshlrev_b32_e32 v33, 3, v0
	v_lshlrev_b32_e32 v0, 5, v0
	s_addc_u32 s7, s7, s9
	global_load_dwordx4 v[4:7], v0, s[0:1] offset:16
	global_load_dwordx4 v[8:11], v0, s[0:1]
	global_load_dwordx4 v[16:19], v0, s[6:7] offset:16
	global_load_dwordx4 v[12:15], v0, s[6:7]
	v_add_u32_e32 v0, 0x500, v33
	v_lshlrev_b32_e32 v32, 2, v0
	global_load_dwordx4 v[24:27], v32, s[6:7] offset:16
	global_load_dwordx4 v[20:23], v32, s[6:7]
	global_load_dwordx2 v[28:29], v32, s[0:1] offset:24
	global_load_dwordx2 v[30:31], v32, s[0:1]
	global_load_dwordx4 v[0:3], v32, s[0:1] offset:8
                                        ; implicit-def: $vgpr35
	s_waitcnt vmcnt(5)
	v_mul_f32_e32 v34, 0x3f3504f3, v12
	v_cmp_nlt_f32_e64 s[0:1], |v34|, 1.0
	s_and_saveexec_b64 s[6:7], s[0:1]
	s_xor_b64 s[0:1], exec, s[6:7]
	s_cbranch_execz .LBB5_2
; %bb.1:
	s_mov_b32 s3, 0x378e98ab
	v_mov_b32_e32 v35, 0xb9c68948
	v_fma_f32 v35, |v34|, s3, v35
	s_mov_b32 s3, 0x3b7cd369
	v_fma_f32 v35, |v34|, v35, s3
	s_mov_b32 s3, 0xbcc618b2
	;; [unrolled: 2-line block ×5, first 2 shown]
	v_fma_f32 v35, |v34|, v35, s3
	v_fma_f32 v35, |v34|, v35, |v34|
	s_mov_b32 s3, 0xbfb8aa3b
	v_mul_f32_e32 v36, 0xbfb8aa3b, v35
	v_fma_f32 v37, v35, s3, -v36
	v_rndne_f32_e32 v38, v36
	v_fmamk_f32 v37, v35, 0xb2a5705f, v37
	v_sub_f32_e32 v36, v36, v38
	v_add_f32_e32 v36, v36, v37
	v_exp_f32_e32 v36, v36
	v_cvt_i32_f32_e32 v37, v38
	s_mov_b32 s3, 0x42ce8ed0
	v_cmp_nlt_f32_e32 vcc, s3, v35
	s_mov_b32 s3, 0xc2b17218
	v_ldexp_f32 v36, v36, v37
	v_cndmask_b32_e32 v36, 0, v36, vcc
	v_mov_b32_e32 v37, 0x7f800000
	v_cmp_ngt_f32_e32 vcc, s3, v35
	s_nop 1
	v_cndmask_b32_e32 v35, v37, v36, vcc
	v_sub_f32_e32 v35, 1.0, v35
.LBB5_2:
	s_andn2_saveexec_b64 s[0:1], s[0:1]
; %bb.3:
	v_mul_f32_e32 v35, v34, v34
	v_mov_b32_e32 v36, 0x3ba10414
	v_fmac_f32_e32 v36, 0xba1345e1, v35
	v_fmaak_f32 v36, v35, v36, 0xbcdac9b8
	v_fmaak_f32 v36, v35, v36, 0x3de703be
	v_fmaak_f32 v36, v35, v36, 0xbec09330
	v_fmaak_f32 v35, v35, v36, 0x3e0375d0
	v_fma_f32 v35, |v34|, v35, |v34|
; %bb.4:
	s_or_b64 exec, exec, s[0:1]
	v_mul_f32_e32 v36, 0x3f3504f3, v13
	v_cmp_nlt_f32_e64 s[0:1], |v36|, 1.0
                                        ; implicit-def: $vgpr37
	s_and_saveexec_b64 s[6:7], s[0:1]
	s_xor_b64 s[0:1], exec, s[6:7]
	s_cbranch_execz .LBB5_6
; %bb.5:
	s_mov_b32 s3, 0x378e98ab
	v_mov_b32_e32 v37, 0xb9c68948
	v_fma_f32 v37, |v36|, s3, v37
	s_mov_b32 s3, 0x3b7cd369
	v_fma_f32 v37, |v36|, v37, s3
	s_mov_b32 s3, 0xbcc618b2
	;; [unrolled: 2-line block ×5, first 2 shown]
	v_fma_f32 v37, |v36|, v37, s3
	v_fma_f32 v37, |v36|, v37, |v36|
	s_mov_b32 s3, 0xbfb8aa3b
	v_mul_f32_e32 v38, 0xbfb8aa3b, v37
	v_fma_f32 v39, v37, s3, -v38
	v_rndne_f32_e32 v40, v38
	v_fmamk_f32 v39, v37, 0xb2a5705f, v39
	v_sub_f32_e32 v38, v38, v40
	v_add_f32_e32 v38, v38, v39
	v_exp_f32_e32 v38, v38
	v_cvt_i32_f32_e32 v39, v40
	s_mov_b32 s3, 0x42ce8ed0
	v_cmp_nlt_f32_e32 vcc, s3, v37
	s_mov_b32 s3, 0xc2b17218
	v_ldexp_f32 v38, v38, v39
	v_cndmask_b32_e32 v38, 0, v38, vcc
	v_mov_b32_e32 v39, 0x7f800000
	v_cmp_ngt_f32_e32 vcc, s3, v37
	s_nop 1
	v_cndmask_b32_e32 v37, v39, v38, vcc
	v_sub_f32_e32 v37, 1.0, v37
.LBB5_6:
	s_andn2_saveexec_b64 s[0:1], s[0:1]
; %bb.7:
	v_mul_f32_e32 v37, v36, v36
	v_mov_b32_e32 v38, 0x3ba10414
	v_fmac_f32_e32 v38, 0xba1345e1, v37
	v_fmaak_f32 v38, v37, v38, 0xbcdac9b8
	v_fmaak_f32 v38, v37, v38, 0x3de703be
	;; [unrolled: 1-line block ×4, first 2 shown]
	v_fma_f32 v37, |v36|, v37, |v36|
; %bb.8:
	s_or_b64 exec, exec, s[0:1]
	v_mul_f32_e32 v38, 0x3f3504f3, v14
	v_cmp_nlt_f32_e64 s[0:1], |v38|, 1.0
                                        ; implicit-def: $vgpr39
	s_and_saveexec_b64 s[6:7], s[0:1]
	s_xor_b64 s[0:1], exec, s[6:7]
	s_cbranch_execz .LBB5_10
; %bb.9:
	s_mov_b32 s3, 0x378e98ab
	v_mov_b32_e32 v39, 0xb9c68948
	v_fma_f32 v39, |v38|, s3, v39
	s_mov_b32 s3, 0x3b7cd369
	v_fma_f32 v39, |v38|, v39, s3
	s_mov_b32 s3, 0xbcc618b2
	;; [unrolled: 2-line block ×5, first 2 shown]
	v_fma_f32 v39, |v38|, v39, s3
	v_fma_f32 v39, |v38|, v39, |v38|
	s_mov_b32 s3, 0xbfb8aa3b
	v_mul_f32_e32 v40, 0xbfb8aa3b, v39
	v_fma_f32 v41, v39, s3, -v40
	v_rndne_f32_e32 v42, v40
	v_fmamk_f32 v41, v39, 0xb2a5705f, v41
	v_sub_f32_e32 v40, v40, v42
	v_add_f32_e32 v40, v40, v41
	v_exp_f32_e32 v40, v40
	v_cvt_i32_f32_e32 v41, v42
	s_mov_b32 s3, 0x42ce8ed0
	v_cmp_nlt_f32_e32 vcc, s3, v39
	s_mov_b32 s3, 0xc2b17218
	v_ldexp_f32 v40, v40, v41
	v_cndmask_b32_e32 v40, 0, v40, vcc
	v_mov_b32_e32 v41, 0x7f800000
	v_cmp_ngt_f32_e32 vcc, s3, v39
	s_nop 1
	v_cndmask_b32_e32 v39, v41, v40, vcc
	v_sub_f32_e32 v39, 1.0, v39
.LBB5_10:
	s_andn2_saveexec_b64 s[0:1], s[0:1]
; %bb.11:
	v_mul_f32_e32 v39, v38, v38
	v_mov_b32_e32 v40, 0x3ba10414
	v_fmac_f32_e32 v40, 0xba1345e1, v39
	v_fmaak_f32 v40, v39, v40, 0xbcdac9b8
	v_fmaak_f32 v40, v39, v40, 0x3de703be
	;; [unrolled: 1-line block ×4, first 2 shown]
	v_fma_f32 v39, |v38|, v39, |v38|
; %bb.12:
	s_or_b64 exec, exec, s[0:1]
	v_mul_f32_e32 v40, 0x3f3504f3, v15
	v_cmp_nlt_f32_e64 s[0:1], |v40|, 1.0
                                        ; implicit-def: $vgpr41
	s_and_saveexec_b64 s[6:7], s[0:1]
	s_xor_b64 s[0:1], exec, s[6:7]
	s_cbranch_execz .LBB5_14
; %bb.13:
	s_mov_b32 s3, 0x378e98ab
	v_mov_b32_e32 v41, 0xb9c68948
	v_fma_f32 v41, |v40|, s3, v41
	s_mov_b32 s3, 0x3b7cd369
	v_fma_f32 v41, |v40|, v41, s3
	s_mov_b32 s3, 0xbcc618b2
	;; [unrolled: 2-line block ×5, first 2 shown]
	v_fma_f32 v41, |v40|, v41, s3
	v_fma_f32 v41, |v40|, v41, |v40|
	s_mov_b32 s3, 0xbfb8aa3b
	v_mul_f32_e32 v42, 0xbfb8aa3b, v41
	v_fma_f32 v43, v41, s3, -v42
	v_rndne_f32_e32 v44, v42
	v_fmamk_f32 v43, v41, 0xb2a5705f, v43
	v_sub_f32_e32 v42, v42, v44
	v_add_f32_e32 v42, v42, v43
	v_exp_f32_e32 v42, v42
	v_cvt_i32_f32_e32 v43, v44
	s_mov_b32 s3, 0x42ce8ed0
	v_cmp_nlt_f32_e32 vcc, s3, v41
	s_mov_b32 s3, 0xc2b17218
	v_ldexp_f32 v42, v42, v43
	v_cndmask_b32_e32 v42, 0, v42, vcc
	v_mov_b32_e32 v43, 0x7f800000
	v_cmp_ngt_f32_e32 vcc, s3, v41
	s_nop 1
	v_cndmask_b32_e32 v41, v43, v42, vcc
	v_sub_f32_e32 v41, 1.0, v41
.LBB5_14:
	s_andn2_saveexec_b64 s[0:1], s[0:1]
; %bb.15:
	v_mul_f32_e32 v41, v40, v40
	v_mov_b32_e32 v42, 0x3ba10414
	v_fmac_f32_e32 v42, 0xba1345e1, v41
	v_fmaak_f32 v42, v41, v42, 0xbcdac9b8
	v_fmaak_f32 v42, v41, v42, 0x3de703be
	;; [unrolled: 1-line block ×4, first 2 shown]
	v_fma_f32 v41, |v40|, v41, |v40|
; %bb.16:
	s_or_b64 exec, exec, s[0:1]
	v_mul_f32_e32 v42, 0x3f3504f3, v16
	v_cmp_nlt_f32_e64 s[0:1], |v42|, 1.0
                                        ; implicit-def: $vgpr43
	s_and_saveexec_b64 s[6:7], s[0:1]
	s_xor_b64 s[0:1], exec, s[6:7]
	s_cbranch_execz .LBB5_18
; %bb.17:
	s_mov_b32 s3, 0x378e98ab
	v_mov_b32_e32 v43, 0xb9c68948
	v_fma_f32 v43, |v42|, s3, v43
	s_mov_b32 s3, 0x3b7cd369
	v_fma_f32 v43, |v42|, v43, s3
	s_mov_b32 s3, 0xbcc618b2
	;; [unrolled: 2-line block ×5, first 2 shown]
	v_fma_f32 v43, |v42|, v43, s3
	v_fma_f32 v43, |v42|, v43, |v42|
	s_mov_b32 s3, 0xbfb8aa3b
	v_mul_f32_e32 v44, 0xbfb8aa3b, v43
	v_fma_f32 v45, v43, s3, -v44
	v_rndne_f32_e32 v46, v44
	v_fmamk_f32 v45, v43, 0xb2a5705f, v45
	v_sub_f32_e32 v44, v44, v46
	v_add_f32_e32 v44, v44, v45
	v_exp_f32_e32 v44, v44
	v_cvt_i32_f32_e32 v45, v46
	s_mov_b32 s3, 0x42ce8ed0
	v_cmp_nlt_f32_e32 vcc, s3, v43
	s_mov_b32 s3, 0xc2b17218
	v_ldexp_f32 v44, v44, v45
	v_cndmask_b32_e32 v44, 0, v44, vcc
	v_mov_b32_e32 v45, 0x7f800000
	v_cmp_ngt_f32_e32 vcc, s3, v43
	s_nop 1
	v_cndmask_b32_e32 v43, v45, v44, vcc
	v_sub_f32_e32 v43, 1.0, v43
.LBB5_18:
	s_andn2_saveexec_b64 s[0:1], s[0:1]
; %bb.19:
	v_mul_f32_e32 v43, v42, v42
	v_mov_b32_e32 v44, 0x3ba10414
	v_fmac_f32_e32 v44, 0xba1345e1, v43
	v_fmaak_f32 v44, v43, v44, 0xbcdac9b8
	v_fmaak_f32 v44, v43, v44, 0x3de703be
	;; [unrolled: 1-line block ×4, first 2 shown]
	v_fma_f32 v43, |v42|, v43, |v42|
; %bb.20:
	s_or_b64 exec, exec, s[0:1]
	v_mul_f32_e32 v44, 0x3f3504f3, v17
	v_cmp_nlt_f32_e64 s[0:1], |v44|, 1.0
                                        ; implicit-def: $vgpr45
	s_and_saveexec_b64 s[6:7], s[0:1]
	s_xor_b64 s[0:1], exec, s[6:7]
	s_cbranch_execz .LBB5_22
; %bb.21:
	s_mov_b32 s3, 0x378e98ab
	v_mov_b32_e32 v45, 0xb9c68948
	v_fma_f32 v45, |v44|, s3, v45
	s_mov_b32 s3, 0x3b7cd369
	v_fma_f32 v45, |v44|, v45, s3
	s_mov_b32 s3, 0xbcc618b2
	;; [unrolled: 2-line block ×5, first 2 shown]
	v_fma_f32 v45, |v44|, v45, s3
	v_fma_f32 v45, |v44|, v45, |v44|
	s_mov_b32 s3, 0xbfb8aa3b
	v_mul_f32_e32 v46, 0xbfb8aa3b, v45
	v_fma_f32 v47, v45, s3, -v46
	v_rndne_f32_e32 v48, v46
	v_fmamk_f32 v47, v45, 0xb2a5705f, v47
	v_sub_f32_e32 v46, v46, v48
	v_add_f32_e32 v46, v46, v47
	v_exp_f32_e32 v46, v46
	v_cvt_i32_f32_e32 v47, v48
	s_mov_b32 s3, 0x42ce8ed0
	v_cmp_nlt_f32_e32 vcc, s3, v45
	s_mov_b32 s3, 0xc2b17218
	v_ldexp_f32 v46, v46, v47
	v_cndmask_b32_e32 v46, 0, v46, vcc
	v_mov_b32_e32 v47, 0x7f800000
	v_cmp_ngt_f32_e32 vcc, s3, v45
	s_nop 1
	v_cndmask_b32_e32 v45, v47, v46, vcc
	v_sub_f32_e32 v45, 1.0, v45
.LBB5_22:
	s_andn2_saveexec_b64 s[0:1], s[0:1]
; %bb.23:
	v_mul_f32_e32 v45, v44, v44
	v_mov_b32_e32 v46, 0x3ba10414
	v_fmac_f32_e32 v46, 0xba1345e1, v45
	v_fmaak_f32 v46, v45, v46, 0xbcdac9b8
	v_fmaak_f32 v46, v45, v46, 0x3de703be
	;; [unrolled: 1-line block ×4, first 2 shown]
	v_fma_f32 v45, |v44|, v45, |v44|
; %bb.24:
	s_or_b64 exec, exec, s[0:1]
	v_mul_f32_e32 v46, 0x3f3504f3, v18
	v_cmp_nlt_f32_e64 s[0:1], |v46|, 1.0
                                        ; implicit-def: $vgpr47
	s_and_saveexec_b64 s[6:7], s[0:1]
	s_xor_b64 s[0:1], exec, s[6:7]
	s_cbranch_execz .LBB5_26
; %bb.25:
	s_mov_b32 s3, 0x378e98ab
	v_mov_b32_e32 v47, 0xb9c68948
	v_fma_f32 v47, |v46|, s3, v47
	s_mov_b32 s3, 0x3b7cd369
	v_fma_f32 v47, |v46|, v47, s3
	s_mov_b32 s3, 0xbcc618b2
	;; [unrolled: 2-line block ×5, first 2 shown]
	v_fma_f32 v47, |v46|, v47, s3
	v_fma_f32 v47, |v46|, v47, |v46|
	s_mov_b32 s3, 0xbfb8aa3b
	v_mul_f32_e32 v48, 0xbfb8aa3b, v47
	v_fma_f32 v49, v47, s3, -v48
	v_rndne_f32_e32 v50, v48
	v_fmamk_f32 v49, v47, 0xb2a5705f, v49
	v_sub_f32_e32 v48, v48, v50
	v_add_f32_e32 v48, v48, v49
	v_exp_f32_e32 v48, v48
	v_cvt_i32_f32_e32 v49, v50
	s_mov_b32 s3, 0x42ce8ed0
	v_cmp_nlt_f32_e32 vcc, s3, v47
	s_mov_b32 s3, 0xc2b17218
	v_ldexp_f32 v48, v48, v49
	v_cndmask_b32_e32 v48, 0, v48, vcc
	v_mov_b32_e32 v49, 0x7f800000
	v_cmp_ngt_f32_e32 vcc, s3, v47
	s_nop 1
	v_cndmask_b32_e32 v47, v49, v48, vcc
	v_sub_f32_e32 v47, 1.0, v47
.LBB5_26:
	s_andn2_saveexec_b64 s[0:1], s[0:1]
; %bb.27:
	v_mul_f32_e32 v47, v46, v46
	v_mov_b32_e32 v48, 0x3ba10414
	v_fmac_f32_e32 v48, 0xba1345e1, v47
	v_fmaak_f32 v48, v47, v48, 0xbcdac9b8
	v_fmaak_f32 v48, v47, v48, 0x3de703be
	;; [unrolled: 1-line block ×4, first 2 shown]
	v_fma_f32 v47, |v46|, v47, |v46|
; %bb.28:
	s_or_b64 exec, exec, s[0:1]
	v_mul_f32_e32 v48, 0x3f3504f3, v19
	v_cmp_nlt_f32_e64 s[0:1], |v48|, 1.0
                                        ; implicit-def: $vgpr49
	s_and_saveexec_b64 s[6:7], s[0:1]
	s_xor_b64 s[0:1], exec, s[6:7]
	s_cbranch_execz .LBB5_30
; %bb.29:
	s_mov_b32 s3, 0x378e98ab
	v_mov_b32_e32 v49, 0xb9c68948
	v_fma_f32 v49, |v48|, s3, v49
	s_mov_b32 s3, 0x3b7cd369
	v_fma_f32 v49, |v48|, v49, s3
	s_mov_b32 s3, 0xbcc618b2
	;; [unrolled: 2-line block ×5, first 2 shown]
	v_fma_f32 v49, |v48|, v49, s3
	v_fma_f32 v49, |v48|, v49, |v48|
	s_mov_b32 s3, 0xbfb8aa3b
	v_mul_f32_e32 v50, 0xbfb8aa3b, v49
	v_fma_f32 v51, v49, s3, -v50
	v_rndne_f32_e32 v52, v50
	v_fmamk_f32 v51, v49, 0xb2a5705f, v51
	v_sub_f32_e32 v50, v50, v52
	v_add_f32_e32 v50, v50, v51
	v_exp_f32_e32 v50, v50
	v_cvt_i32_f32_e32 v51, v52
	s_mov_b32 s3, 0x42ce8ed0
	v_cmp_nlt_f32_e32 vcc, s3, v49
	s_mov_b32 s3, 0xc2b17218
	v_ldexp_f32 v50, v50, v51
	v_cndmask_b32_e32 v50, 0, v50, vcc
	v_mov_b32_e32 v51, 0x7f800000
	v_cmp_ngt_f32_e32 vcc, s3, v49
	s_nop 1
	v_cndmask_b32_e32 v49, v51, v50, vcc
	v_sub_f32_e32 v49, 1.0, v49
.LBB5_30:
	s_andn2_saveexec_b64 s[0:1], s[0:1]
; %bb.31:
	v_mul_f32_e32 v49, v48, v48
	v_mov_b32_e32 v50, 0x3ba10414
	v_fmac_f32_e32 v50, 0xba1345e1, v49
	v_fmaak_f32 v50, v49, v50, 0xbcdac9b8
	v_fmaak_f32 v50, v49, v50, 0x3de703be
	;; [unrolled: 1-line block ×4, first 2 shown]
	v_fma_f32 v49, |v48|, v49, |v48|
; %bb.32:
	s_or_b64 exec, exec, s[0:1]
	s_waitcnt vmcnt(3)
	v_mul_f32_e32 v50, 0x3f3504f3, v20
	v_cmp_nlt_f32_e64 s[0:1], |v50|, 1.0
                                        ; implicit-def: $vgpr51
	s_and_saveexec_b64 s[6:7], s[0:1]
	s_xor_b64 s[0:1], exec, s[6:7]
	s_cbranch_execz .LBB5_34
; %bb.33:
	s_mov_b32 s3, 0x378e98ab
	v_mov_b32_e32 v51, 0xb9c68948
	v_fma_f32 v51, |v50|, s3, v51
	s_mov_b32 s3, 0x3b7cd369
	v_fma_f32 v51, |v50|, v51, s3
	s_mov_b32 s3, 0xbcc618b2
	;; [unrolled: 2-line block ×5, first 2 shown]
	v_fma_f32 v51, |v50|, v51, s3
	v_fma_f32 v51, |v50|, v51, |v50|
	s_mov_b32 s3, 0xbfb8aa3b
	v_mul_f32_e32 v52, 0xbfb8aa3b, v51
	v_fma_f32 v53, v51, s3, -v52
	v_rndne_f32_e32 v54, v52
	v_fmamk_f32 v53, v51, 0xb2a5705f, v53
	v_sub_f32_e32 v52, v52, v54
	v_add_f32_e32 v52, v52, v53
	v_exp_f32_e32 v52, v52
	v_cvt_i32_f32_e32 v53, v54
	s_mov_b32 s3, 0x42ce8ed0
	v_cmp_nlt_f32_e32 vcc, s3, v51
	s_mov_b32 s3, 0xc2b17218
	v_ldexp_f32 v52, v52, v53
	v_cndmask_b32_e32 v52, 0, v52, vcc
	v_mov_b32_e32 v53, 0x7f800000
	v_cmp_ngt_f32_e32 vcc, s3, v51
	s_nop 1
	v_cndmask_b32_e32 v51, v53, v52, vcc
	v_sub_f32_e32 v51, 1.0, v51
.LBB5_34:
	s_andn2_saveexec_b64 s[0:1], s[0:1]
; %bb.35:
	v_mul_f32_e32 v51, v50, v50
	v_mov_b32_e32 v52, 0x3ba10414
	v_fmac_f32_e32 v52, 0xba1345e1, v51
	v_fmaak_f32 v52, v51, v52, 0xbcdac9b8
	v_fmaak_f32 v52, v51, v52, 0x3de703be
	;; [unrolled: 1-line block ×4, first 2 shown]
	v_fma_f32 v51, |v50|, v51, |v50|
; %bb.36:
	s_or_b64 exec, exec, s[0:1]
	v_mul_f32_e32 v52, 0x3f3504f3, v21
	v_cmp_nlt_f32_e64 s[0:1], |v52|, 1.0
                                        ; implicit-def: $vgpr53
	s_and_saveexec_b64 s[6:7], s[0:1]
	s_xor_b64 s[0:1], exec, s[6:7]
	s_cbranch_execz .LBB5_38
; %bb.37:
	s_mov_b32 s3, 0x378e98ab
	v_mov_b32_e32 v53, 0xb9c68948
	v_fma_f32 v53, |v52|, s3, v53
	s_mov_b32 s3, 0x3b7cd369
	v_fma_f32 v53, |v52|, v53, s3
	s_mov_b32 s3, 0xbcc618b2
	;; [unrolled: 2-line block ×5, first 2 shown]
	v_fma_f32 v53, |v52|, v53, s3
	v_fma_f32 v53, |v52|, v53, |v52|
	s_mov_b32 s3, 0xbfb8aa3b
	v_mul_f32_e32 v54, 0xbfb8aa3b, v53
	v_fma_f32 v55, v53, s3, -v54
	v_rndne_f32_e32 v56, v54
	v_fmamk_f32 v55, v53, 0xb2a5705f, v55
	v_sub_f32_e32 v54, v54, v56
	v_add_f32_e32 v54, v54, v55
	v_exp_f32_e32 v54, v54
	v_cvt_i32_f32_e32 v55, v56
	s_mov_b32 s3, 0x42ce8ed0
	v_cmp_nlt_f32_e32 vcc, s3, v53
	s_mov_b32 s3, 0xc2b17218
	v_ldexp_f32 v54, v54, v55
	v_cndmask_b32_e32 v54, 0, v54, vcc
	v_mov_b32_e32 v55, 0x7f800000
	v_cmp_ngt_f32_e32 vcc, s3, v53
	s_nop 1
	v_cndmask_b32_e32 v53, v55, v54, vcc
	v_sub_f32_e32 v53, 1.0, v53
.LBB5_38:
	s_andn2_saveexec_b64 s[0:1], s[0:1]
; %bb.39:
	v_mul_f32_e32 v53, v52, v52
	v_mov_b32_e32 v54, 0x3ba10414
	v_fmac_f32_e32 v54, 0xba1345e1, v53
	v_fmaak_f32 v54, v53, v54, 0xbcdac9b8
	v_fmaak_f32 v54, v53, v54, 0x3de703be
	;; [unrolled: 1-line block ×4, first 2 shown]
	v_fma_f32 v53, |v52|, v53, |v52|
; %bb.40:
	s_or_b64 exec, exec, s[0:1]
	v_mul_f32_e32 v54, 0x3f3504f3, v22
	v_cmp_nlt_f32_e64 s[0:1], |v54|, 1.0
                                        ; implicit-def: $vgpr55
	s_and_saveexec_b64 s[6:7], s[0:1]
	s_xor_b64 s[0:1], exec, s[6:7]
	s_cbranch_execz .LBB5_42
; %bb.41:
	s_mov_b32 s3, 0x378e98ab
	v_mov_b32_e32 v55, 0xb9c68948
	v_fma_f32 v55, |v54|, s3, v55
	s_mov_b32 s3, 0x3b7cd369
	v_fma_f32 v55, |v54|, v55, s3
	s_mov_b32 s3, 0xbcc618b2
	;; [unrolled: 2-line block ×5, first 2 shown]
	v_fma_f32 v55, |v54|, v55, s3
	v_fma_f32 v55, |v54|, v55, |v54|
	s_mov_b32 s3, 0xbfb8aa3b
	v_mul_f32_e32 v56, 0xbfb8aa3b, v55
	v_fma_f32 v57, v55, s3, -v56
	v_rndne_f32_e32 v58, v56
	v_fmamk_f32 v57, v55, 0xb2a5705f, v57
	v_sub_f32_e32 v56, v56, v58
	v_add_f32_e32 v56, v56, v57
	v_exp_f32_e32 v56, v56
	v_cvt_i32_f32_e32 v57, v58
	s_mov_b32 s3, 0x42ce8ed0
	v_cmp_nlt_f32_e32 vcc, s3, v55
	s_mov_b32 s3, 0xc2b17218
	v_ldexp_f32 v56, v56, v57
	v_cndmask_b32_e32 v56, 0, v56, vcc
	v_mov_b32_e32 v57, 0x7f800000
	v_cmp_ngt_f32_e32 vcc, s3, v55
	s_nop 1
	v_cndmask_b32_e32 v55, v57, v56, vcc
	v_sub_f32_e32 v55, 1.0, v55
.LBB5_42:
	s_andn2_saveexec_b64 s[0:1], s[0:1]
; %bb.43:
	v_mul_f32_e32 v55, v54, v54
	v_mov_b32_e32 v56, 0x3ba10414
	v_fmac_f32_e32 v56, 0xba1345e1, v55
	v_fmaak_f32 v56, v55, v56, 0xbcdac9b8
	v_fmaak_f32 v56, v55, v56, 0x3de703be
	;; [unrolled: 1-line block ×4, first 2 shown]
	v_fma_f32 v55, |v54|, v55, |v54|
; %bb.44:
	s_or_b64 exec, exec, s[0:1]
	v_mul_f32_e32 v56, 0x3f3504f3, v23
	v_cmp_nlt_f32_e64 s[0:1], |v56|, 1.0
                                        ; implicit-def: $vgpr57
	s_and_saveexec_b64 s[6:7], s[0:1]
	s_xor_b64 s[0:1], exec, s[6:7]
	s_cbranch_execz .LBB5_46
; %bb.45:
	s_mov_b32 s3, 0x378e98ab
	v_mov_b32_e32 v57, 0xb9c68948
	v_fma_f32 v57, |v56|, s3, v57
	s_mov_b32 s3, 0x3b7cd369
	v_fma_f32 v57, |v56|, v57, s3
	s_mov_b32 s3, 0xbcc618b2
	;; [unrolled: 2-line block ×5, first 2 shown]
	v_fma_f32 v57, |v56|, v57, s3
	v_fma_f32 v57, |v56|, v57, |v56|
	s_mov_b32 s3, 0xbfb8aa3b
	v_mul_f32_e32 v58, 0xbfb8aa3b, v57
	v_fma_f32 v59, v57, s3, -v58
	v_rndne_f32_e32 v60, v58
	v_fmamk_f32 v59, v57, 0xb2a5705f, v59
	v_sub_f32_e32 v58, v58, v60
	v_add_f32_e32 v58, v58, v59
	v_exp_f32_e32 v58, v58
	v_cvt_i32_f32_e32 v59, v60
	s_mov_b32 s3, 0x42ce8ed0
	v_cmp_nlt_f32_e32 vcc, s3, v57
	s_mov_b32 s3, 0xc2b17218
	v_ldexp_f32 v58, v58, v59
	v_cndmask_b32_e32 v58, 0, v58, vcc
	v_mov_b32_e32 v59, 0x7f800000
	v_cmp_ngt_f32_e32 vcc, s3, v57
	s_nop 1
	v_cndmask_b32_e32 v57, v59, v58, vcc
	v_sub_f32_e32 v57, 1.0, v57
.LBB5_46:
	s_andn2_saveexec_b64 s[0:1], s[0:1]
; %bb.47:
	v_mul_f32_e32 v57, v56, v56
	v_mov_b32_e32 v58, 0x3ba10414
	v_fmac_f32_e32 v58, 0xba1345e1, v57
	v_fmaak_f32 v58, v57, v58, 0xbcdac9b8
	v_fmaak_f32 v58, v57, v58, 0x3de703be
	;; [unrolled: 1-line block ×4, first 2 shown]
	v_fma_f32 v57, |v56|, v57, |v56|
; %bb.48:
	s_or_b64 exec, exec, s[0:1]
	v_mul_f32_e32 v58, 0x3f3504f3, v24
	v_cmp_nlt_f32_e64 s[0:1], |v58|, 1.0
                                        ; implicit-def: $vgpr59
	s_and_saveexec_b64 s[6:7], s[0:1]
	s_xor_b64 s[0:1], exec, s[6:7]
	s_cbranch_execz .LBB5_50
; %bb.49:
	s_mov_b32 s3, 0x378e98ab
	v_mov_b32_e32 v59, 0xb9c68948
	v_fma_f32 v59, |v58|, s3, v59
	s_mov_b32 s3, 0x3b7cd369
	v_fma_f32 v59, |v58|, v59, s3
	s_mov_b32 s3, 0xbcc618b2
	v_fma_f32 v59, |v58|, v59, s3
	s_mov_b32 s3, 0x3dda74e4
	v_fma_f32 v59, |v58|, v59, s3
	s_mov_b32 s3, 0x3f228afd
	v_fma_f32 v59, |v58|, v59, s3
	s_mov_b32 s3, 0x3e03c728
	v_fma_f32 v59, |v58|, v59, s3
	v_fma_f32 v59, |v58|, v59, |v58|
	s_mov_b32 s3, 0xbfb8aa3b
	v_mul_f32_e32 v60, 0xbfb8aa3b, v59
	v_fma_f32 v61, v59, s3, -v60
	v_rndne_f32_e32 v62, v60
	v_fmamk_f32 v61, v59, 0xb2a5705f, v61
	v_sub_f32_e32 v60, v60, v62
	v_add_f32_e32 v60, v60, v61
	v_exp_f32_e32 v60, v60
	v_cvt_i32_f32_e32 v61, v62
	s_mov_b32 s3, 0x42ce8ed0
	v_cmp_nlt_f32_e32 vcc, s3, v59
	s_mov_b32 s3, 0xc2b17218
	v_ldexp_f32 v60, v60, v61
	v_cndmask_b32_e32 v60, 0, v60, vcc
	v_mov_b32_e32 v61, 0x7f800000
	v_cmp_ngt_f32_e32 vcc, s3, v59
	s_nop 1
	v_cndmask_b32_e32 v59, v61, v60, vcc
	v_sub_f32_e32 v59, 1.0, v59
.LBB5_50:
	s_andn2_saveexec_b64 s[0:1], s[0:1]
; %bb.51:
	v_mul_f32_e32 v59, v58, v58
	v_mov_b32_e32 v60, 0x3ba10414
	v_fmac_f32_e32 v60, 0xba1345e1, v59
	v_fmaak_f32 v60, v59, v60, 0xbcdac9b8
	v_fmaak_f32 v60, v59, v60, 0x3de703be
	;; [unrolled: 1-line block ×4, first 2 shown]
	v_fma_f32 v59, |v58|, v59, |v58|
; %bb.52:
	s_or_b64 exec, exec, s[0:1]
	v_mul_f32_e32 v60, 0x3f3504f3, v25
	v_cmp_nlt_f32_e64 s[0:1], |v60|, 1.0
                                        ; implicit-def: $vgpr61
	s_and_saveexec_b64 s[6:7], s[0:1]
	s_xor_b64 s[0:1], exec, s[6:7]
	s_cbranch_execz .LBB5_54
; %bb.53:
	s_mov_b32 s3, 0x378e98ab
	v_mov_b32_e32 v61, 0xb9c68948
	v_fma_f32 v61, |v60|, s3, v61
	s_mov_b32 s3, 0x3b7cd369
	v_fma_f32 v61, |v60|, v61, s3
	s_mov_b32 s3, 0xbcc618b2
	;; [unrolled: 2-line block ×5, first 2 shown]
	v_fma_f32 v61, |v60|, v61, s3
	v_fma_f32 v61, |v60|, v61, |v60|
	s_mov_b32 s3, 0xbfb8aa3b
	v_mul_f32_e32 v62, 0xbfb8aa3b, v61
	v_fma_f32 v63, v61, s3, -v62
	v_rndne_f32_e32 v64, v62
	v_fmamk_f32 v63, v61, 0xb2a5705f, v63
	v_sub_f32_e32 v62, v62, v64
	v_add_f32_e32 v62, v62, v63
	v_exp_f32_e32 v62, v62
	v_cvt_i32_f32_e32 v63, v64
	s_mov_b32 s3, 0x42ce8ed0
	v_cmp_nlt_f32_e32 vcc, s3, v61
	s_mov_b32 s3, 0xc2b17218
	v_ldexp_f32 v62, v62, v63
	v_cndmask_b32_e32 v62, 0, v62, vcc
	v_mov_b32_e32 v63, 0x7f800000
	v_cmp_ngt_f32_e32 vcc, s3, v61
	s_nop 1
	v_cndmask_b32_e32 v61, v63, v62, vcc
	v_sub_f32_e32 v61, 1.0, v61
.LBB5_54:
	s_andn2_saveexec_b64 s[0:1], s[0:1]
; %bb.55:
	v_mul_f32_e32 v61, v60, v60
	v_mov_b32_e32 v62, 0x3ba10414
	v_fmac_f32_e32 v62, 0xba1345e1, v61
	v_fmaak_f32 v62, v61, v62, 0xbcdac9b8
	v_fmaak_f32 v62, v61, v62, 0x3de703be
	;; [unrolled: 1-line block ×4, first 2 shown]
	v_fma_f32 v61, |v60|, v61, |v60|
; %bb.56:
	s_or_b64 exec, exec, s[0:1]
	v_mul_f32_e32 v62, 0x3f3504f3, v26
	v_cmp_nlt_f32_e64 s[0:1], |v62|, 1.0
                                        ; implicit-def: $vgpr63
	s_and_saveexec_b64 s[6:7], s[0:1]
	s_xor_b64 s[0:1], exec, s[6:7]
	s_cbranch_execz .LBB5_58
; %bb.57:
	s_mov_b32 s3, 0x378e98ab
	v_mov_b32_e32 v63, 0xb9c68948
	v_fma_f32 v63, |v62|, s3, v63
	s_mov_b32 s3, 0x3b7cd369
	v_fma_f32 v63, |v62|, v63, s3
	s_mov_b32 s3, 0xbcc618b2
	;; [unrolled: 2-line block ×5, first 2 shown]
	v_fma_f32 v63, |v62|, v63, s3
	v_fma_f32 v63, |v62|, v63, |v62|
	s_mov_b32 s3, 0xbfb8aa3b
	v_mul_f32_e32 v64, 0xbfb8aa3b, v63
	v_fma_f32 v65, v63, s3, -v64
	v_rndne_f32_e32 v66, v64
	v_fmamk_f32 v65, v63, 0xb2a5705f, v65
	v_sub_f32_e32 v64, v64, v66
	v_add_f32_e32 v64, v64, v65
	v_exp_f32_e32 v64, v64
	v_cvt_i32_f32_e32 v65, v66
	s_mov_b32 s3, 0x42ce8ed0
	v_cmp_nlt_f32_e32 vcc, s3, v63
	s_mov_b32 s3, 0xc2b17218
	v_ldexp_f32 v64, v64, v65
	v_cndmask_b32_e32 v64, 0, v64, vcc
	v_mov_b32_e32 v65, 0x7f800000
	v_cmp_ngt_f32_e32 vcc, s3, v63
	s_nop 1
	v_cndmask_b32_e32 v63, v65, v64, vcc
	v_sub_f32_e32 v63, 1.0, v63
.LBB5_58:
	s_andn2_saveexec_b64 s[0:1], s[0:1]
; %bb.59:
	v_mul_f32_e32 v63, v62, v62
	v_mov_b32_e32 v64, 0x3ba10414
	v_fmac_f32_e32 v64, 0xba1345e1, v63
	v_fmaak_f32 v64, v63, v64, 0xbcdac9b8
	v_fmaak_f32 v64, v63, v64, 0x3de703be
	;; [unrolled: 1-line block ×4, first 2 shown]
	v_fma_f32 v63, |v62|, v63, |v62|
; %bb.60:
	s_or_b64 exec, exec, s[0:1]
	v_mul_f32_e32 v64, 0x3f3504f3, v27
	v_cmp_nlt_f32_e64 s[0:1], |v64|, 1.0
                                        ; implicit-def: $vgpr65
	s_and_saveexec_b64 s[6:7], s[0:1]
	s_xor_b64 s[0:1], exec, s[6:7]
	s_cbranch_execz .LBB5_62
; %bb.61:
	s_mov_b32 s3, 0x378e98ab
	v_mov_b32_e32 v65, 0xb9c68948
	v_fma_f32 v65, |v64|, s3, v65
	s_mov_b32 s3, 0x3b7cd369
	v_fma_f32 v65, |v64|, v65, s3
	s_mov_b32 s3, 0xbcc618b2
	;; [unrolled: 2-line block ×5, first 2 shown]
	v_fma_f32 v65, |v64|, v65, s3
	v_fma_f32 v65, |v64|, v65, |v64|
	s_mov_b32 s3, 0xbfb8aa3b
	v_mul_f32_e32 v66, 0xbfb8aa3b, v65
	v_fma_f32 v67, v65, s3, -v66
	v_rndne_f32_e32 v68, v66
	v_fmamk_f32 v67, v65, 0xb2a5705f, v67
	v_sub_f32_e32 v66, v66, v68
	v_add_f32_e32 v66, v66, v67
	v_exp_f32_e32 v66, v66
	v_cvt_i32_f32_e32 v67, v68
	s_mov_b32 s3, 0x42ce8ed0
	v_cmp_nlt_f32_e32 vcc, s3, v65
	s_mov_b32 s3, 0xc2b17218
	v_ldexp_f32 v66, v66, v67
	v_cndmask_b32_e32 v66, 0, v66, vcc
	v_mov_b32_e32 v67, 0x7f800000
	v_cmp_ngt_f32_e32 vcc, s3, v65
	s_nop 1
	v_cndmask_b32_e32 v65, v67, v66, vcc
	v_sub_f32_e32 v65, 1.0, v65
.LBB5_62:
	s_andn2_saveexec_b64 s[0:1], s[0:1]
; %bb.63:
	v_mul_f32_e32 v65, v64, v64
	v_mov_b32_e32 v66, 0x3ba10414
	v_fmac_f32_e32 v66, 0xba1345e1, v65
	v_fmaak_f32 v66, v65, v66, 0xbcdac9b8
	v_fmaak_f32 v66, v65, v66, 0x3de703be
	;; [unrolled: 1-line block ×4, first 2 shown]
	v_fma_f32 v65, |v64|, v65, |v64|
; %bb.64:
	s_or_b64 exec, exec, s[0:1]
	s_brev_b32 s0, -2
	v_bfi_b32 v37, s0, v37, v36
	v_bfi_b32 v36, s0, v35, v34
	v_pk_mul_f32 v[12:13], v[12:13], 0.5 op_sel_hi:[1,0]
	v_pk_add_f32 v[34:35], v[36:37], 1.0 op_sel_hi:[1,0]
	v_bfi_b32 v65, s0, v65, v64
	v_bfi_b32 v64, s0, v63, v62
	;; [unrolled: 1-line block ×14, first 2 shown]
	s_bfe_u32 s0, s2, 0x1e0001
	v_pk_mul_f32 v[12:13], v[12:13], v[34:35]
	v_pk_mul_f32 v[14:15], v[14:15], 0.5 op_sel_hi:[1,0]
	s_mul_hi_u32 s1, s0, 0x5000
	s_mulk_i32 s0, 0x5000
	v_pk_mul_f32 v[8:9], v[8:9], v[12:13]
	v_pk_add_f32 v[12:13], v[40:41], 1.0 op_sel_hi:[1,0]
	s_add_u32 s0, s4, s0
	v_pk_mul_f32 v[12:13], v[14:15], v[12:13]
	s_addc_u32 s1, s5, s1
	v_lshlrev_b32_e32 v33, 2, v33
	v_pk_mul_f32 v[10:11], v[10:11], v[12:13]
	v_pk_mul_f32 v[16:17], v[16:17], 0.5 op_sel_hi:[1,0]
	global_store_dwordx4 v33, v[8:11], s[0:1]
	v_pk_mul_f32 v[18:19], v[18:19], 0.5 op_sel_hi:[1,0]
	v_pk_mul_f32 v[22:23], v[22:23], 0.5 op_sel_hi:[1,0]
	v_pk_add_f32 v[8:9], v[44:45], 1.0 op_sel_hi:[1,0]
	v_pk_mul_f32 v[24:25], v[24:25], 0.5 op_sel_hi:[1,0]
	v_pk_mul_f32 v[8:9], v[16:17], v[8:9]
	v_pk_mul_f32 v[26:27], v[26:27], 0.5 op_sel_hi:[1,0]
	v_pk_mul_f32 v[4:5], v[4:5], v[8:9]
	v_pk_add_f32 v[8:9], v[48:49], 1.0 op_sel_hi:[1,0]
	v_pk_mul_f32 v[20:21], v[20:21], 0.5 op_sel_hi:[1,0]
	v_pk_mul_f32 v[8:9], v[18:19], v[8:9]
	s_nop 0
	v_pk_mul_f32 v[6:7], v[6:7], v[8:9]
	global_store_dwordx4 v33, v[4:7], s[0:1] offset:16
	s_nop 1
	v_pk_add_f32 v[6:7], v[56:57], 1.0 op_sel_hi:[1,0]
	v_pk_add_f32 v[4:5], v[52:53], 1.0 op_sel_hi:[1,0]
	v_pk_mul_f32 v[6:7], v[22:23], v[6:7]
	v_pk_mul_f32 v[4:5], v[20:21], v[4:5]
	s_waitcnt vmcnt(2)
	v_pk_mul_f32 v[6:7], v[0:1], v[6:7]
	v_pk_add_f32 v[0:1], v[60:61], 1.0 op_sel_hi:[1,0]
	v_pk_mul_f32 v[4:5], v[30:31], v[4:5]
	v_pk_mul_f32 v[0:1], v[24:25], v[0:1]
	global_store_dwordx4 v32, v[4:7], s[0:1]
	v_pk_mul_f32 v[0:1], v[2:3], v[0:1]
	v_pk_add_f32 v[2:3], v[64:65], 1.0 op_sel_hi:[1,0]
	s_nop 0
	v_pk_mul_f32 v[2:3], v[26:27], v[2:3]
	s_nop 0
	v_pk_mul_f32 v[2:3], v[28:29], v[2:3]
	global_store_dwordx4 v32, v[0:3], s[0:1] offset:16
	s_endpgm
	.section	.rodata,"a",@progbits
	.p2align	6, 0x0
	.amdhsa_kernel _Z12geglu_kernelIffLi160ELi5120ELi8ELi2EEvPT_PKS0_
		.amdhsa_group_segment_fixed_size 0
		.amdhsa_private_segment_fixed_size 0
		.amdhsa_kernarg_size 16
		.amdhsa_user_sgpr_count 2
		.amdhsa_user_sgpr_dispatch_ptr 0
		.amdhsa_user_sgpr_queue_ptr 0
		.amdhsa_user_sgpr_kernarg_segment_ptr 1
		.amdhsa_user_sgpr_dispatch_id 0
		.amdhsa_user_sgpr_kernarg_preload_length 0
		.amdhsa_user_sgpr_kernarg_preload_offset 0
		.amdhsa_user_sgpr_private_segment_size 0
		.amdhsa_uses_dynamic_stack 0
		.amdhsa_enable_private_segment 0
		.amdhsa_system_sgpr_workgroup_id_x 1
		.amdhsa_system_sgpr_workgroup_id_y 0
		.amdhsa_system_sgpr_workgroup_id_z 0
		.amdhsa_system_sgpr_workgroup_info 0
		.amdhsa_system_vgpr_workitem_id 0
		.amdhsa_next_free_vgpr 69
		.amdhsa_next_free_sgpr 10
		.amdhsa_accum_offset 72
		.amdhsa_reserve_vcc 1
		.amdhsa_float_round_mode_32 0
		.amdhsa_float_round_mode_16_64 0
		.amdhsa_float_denorm_mode_32 3
		.amdhsa_float_denorm_mode_16_64 3
		.amdhsa_dx10_clamp 1
		.amdhsa_ieee_mode 1
		.amdhsa_fp16_overflow 0
		.amdhsa_tg_split 0
		.amdhsa_exception_fp_ieee_invalid_op 0
		.amdhsa_exception_fp_denorm_src 0
		.amdhsa_exception_fp_ieee_div_zero 0
		.amdhsa_exception_fp_ieee_overflow 0
		.amdhsa_exception_fp_ieee_underflow 0
		.amdhsa_exception_fp_ieee_inexact 0
		.amdhsa_exception_int_div_zero 0
	.end_amdhsa_kernel
	.section	.text._Z12geglu_kernelIffLi160ELi5120ELi8ELi2EEvPT_PKS0_,"axG",@progbits,_Z12geglu_kernelIffLi160ELi5120ELi8ELi2EEvPT_PKS0_,comdat
.Lfunc_end5:
	.size	_Z12geglu_kernelIffLi160ELi5120ELi8ELi2EEvPT_PKS0_, .Lfunc_end5-_Z12geglu_kernelIffLi160ELi5120ELi8ELi2EEvPT_PKS0_
                                        ; -- End function
	.set _Z12geglu_kernelIffLi160ELi5120ELi8ELi2EEvPT_PKS0_.num_vgpr, 69
	.set _Z12geglu_kernelIffLi160ELi5120ELi8ELi2EEvPT_PKS0_.num_agpr, 0
	.set _Z12geglu_kernelIffLi160ELi5120ELi8ELi2EEvPT_PKS0_.numbered_sgpr, 10
	.set _Z12geglu_kernelIffLi160ELi5120ELi8ELi2EEvPT_PKS0_.num_named_barrier, 0
	.set _Z12geglu_kernelIffLi160ELi5120ELi8ELi2EEvPT_PKS0_.private_seg_size, 0
	.set _Z12geglu_kernelIffLi160ELi5120ELi8ELi2EEvPT_PKS0_.uses_vcc, 1
	.set _Z12geglu_kernelIffLi160ELi5120ELi8ELi2EEvPT_PKS0_.uses_flat_scratch, 0
	.set _Z12geglu_kernelIffLi160ELi5120ELi8ELi2EEvPT_PKS0_.has_dyn_sized_stack, 0
	.set _Z12geglu_kernelIffLi160ELi5120ELi8ELi2EEvPT_PKS0_.has_recursion, 0
	.set _Z12geglu_kernelIffLi160ELi5120ELi8ELi2EEvPT_PKS0_.has_indirect_call, 0
	.section	.AMDGPU.csdata,"",@progbits
; Kernel info:
; codeLenInByte = 5716
; TotalNumSgprs: 16
; NumVgprs: 69
; NumAgprs: 0
; TotalNumVgprs: 69
; ScratchSize: 0
; MemoryBound: 0
; FloatMode: 240
; IeeeMode: 1
; LDSByteSize: 0 bytes/workgroup (compile time only)
; SGPRBlocks: 1
; VGPRBlocks: 8
; NumSGPRsForWavesPerEU: 16
; NumVGPRsForWavesPerEU: 69
; AccumOffset: 72
; Occupancy: 7
; WaveLimiterHint : 0
; COMPUTE_PGM_RSRC2:SCRATCH_EN: 0
; COMPUTE_PGM_RSRC2:USER_SGPR: 2
; COMPUTE_PGM_RSRC2:TRAP_HANDLER: 0
; COMPUTE_PGM_RSRC2:TGID_X_EN: 1
; COMPUTE_PGM_RSRC2:TGID_Y_EN: 0
; COMPUTE_PGM_RSRC2:TGID_Z_EN: 0
; COMPUTE_PGM_RSRC2:TIDIG_COMP_CNT: 0
; COMPUTE_PGM_RSRC3_GFX90A:ACCUM_OFFSET: 17
; COMPUTE_PGM_RSRC3_GFX90A:TG_SPLIT: 0
	.section	.AMDGPU.gpr_maximums,"",@progbits
	.set amdgpu.max_num_vgpr, 0
	.set amdgpu.max_num_agpr, 0
	.set amdgpu.max_num_sgpr, 0
	.section	.AMDGPU.csdata,"",@progbits
	.type	__hip_cuid_d658d91a80fabaab,@object ; @__hip_cuid_d658d91a80fabaab
	.section	.bss,"aw",@nobits
	.globl	__hip_cuid_d658d91a80fabaab
__hip_cuid_d658d91a80fabaab:
	.byte	0                               ; 0x0
	.size	__hip_cuid_d658d91a80fabaab, 1

	.ident	"AMD clang version 22.0.0git (https://github.com/RadeonOpenCompute/llvm-project roc-7.2.4 26084 f58b06dce1f9c15707c5f808fd002e18c2accf7e)"
	.section	".note.GNU-stack","",@progbits
	.addrsig
	.addrsig_sym __hip_cuid_d658d91a80fabaab
	.amdgpu_metadata
---
amdhsa.kernels:
  - .agpr_count:     0
    .args:
      - .address_space:  global
        .offset:         0
        .size:           8
        .value_kind:     global_buffer
      - .address_space:  global
        .offset:         8
        .size:           8
        .value_kind:     global_buffer
    .group_segment_fixed_size: 0
    .kernarg_segment_align: 8
    .kernarg_segment_size: 16
    .language:       OpenCL C
    .language_version:
      - 2
      - 0
    .max_flat_workgroup_size: 1024
    .name:           _Z12geglu_kernelIffLi160ELi1280ELi8ELi1EEvPT_PKS0_
    .private_segment_fixed_size: 0
    .sgpr_count:     15
    .sgpr_spill_count: 0
    .symbol:         _Z12geglu_kernelIffLi160ELi1280ELi8ELi1EEvPT_PKS0_.kd
    .uniform_work_group_size: 1
    .uses_dynamic_stack: false
    .vgpr_count:     36
    .vgpr_spill_count: 0
    .wavefront_size: 64
  - .agpr_count:     0
    .args:
      - .address_space:  global
        .offset:         0
        .size:           8
        .value_kind:     global_buffer
      - .address_space:  global
        .offset:         8
        .size:           8
        .value_kind:     global_buffer
    .group_segment_fixed_size: 0
    .kernarg_segment_align: 8
    .kernarg_segment_size: 16
    .language:       OpenCL C
    .language_version:
      - 2
      - 0
    .max_flat_workgroup_size: 1024
    .name:           _Z12geglu_kernelIffLi160ELi2560ELi8ELi1EEvPT_PKS0_
    .private_segment_fixed_size: 0
    .sgpr_count:     15
    .sgpr_spill_count: 0
    .symbol:         _Z12geglu_kernelIffLi160ELi2560ELi8ELi1EEvPT_PKS0_.kd
    .uniform_work_group_size: 1
    .uses_dynamic_stack: false
    .vgpr_count:     36
    .vgpr_spill_count: 0
    .wavefront_size: 64
  - .agpr_count:     0
    .args:
      - .address_space:  global
        .offset:         0
        .size:           8
        .value_kind:     global_buffer
      - .address_space:  global
        .offset:         8
        .size:           8
        .value_kind:     global_buffer
    .group_segment_fixed_size: 0
    .kernarg_segment_align: 8
    .kernarg_segment_size: 16
    .language:       OpenCL C
    .language_version:
      - 2
      - 0
    .max_flat_workgroup_size: 1024
    .name:           _Z12geglu_kernelIffLi160ELi5120ELi8ELi1EEvPT_PKS0_
    .private_segment_fixed_size: 0
    .sgpr_count:     15
    .sgpr_spill_count: 0
    .symbol:         _Z12geglu_kernelIffLi160ELi5120ELi8ELi1EEvPT_PKS0_.kd
    .uniform_work_group_size: 1
    .uses_dynamic_stack: false
    .vgpr_count:     36
    .vgpr_spill_count: 0
    .wavefront_size: 64
  - .agpr_count:     0
    .args:
      - .address_space:  global
        .offset:         0
        .size:           8
        .value_kind:     global_buffer
      - .address_space:  global
        .offset:         8
        .size:           8
        .value_kind:     global_buffer
    .group_segment_fixed_size: 0
    .kernarg_segment_align: 8
    .kernarg_segment_size: 16
    .language:       OpenCL C
    .language_version:
      - 2
      - 0
    .max_flat_workgroup_size: 1024
    .name:           _Z12geglu_kernelIffLi160ELi1280ELi8ELi2EEvPT_PKS0_
    .private_segment_fixed_size: 0
    .sgpr_count:     14
    .sgpr_spill_count: 0
    .symbol:         _Z12geglu_kernelIffLi160ELi1280ELi8ELi2EEvPT_PKS0_.kd
    .uniform_work_group_size: 1
    .uses_dynamic_stack: false
    .vgpr_count:     68
    .vgpr_spill_count: 0
    .wavefront_size: 64
  - .agpr_count:     0
    .args:
      - .address_space:  global
        .offset:         0
        .size:           8
        .value_kind:     global_buffer
      - .address_space:  global
        .offset:         8
        .size:           8
        .value_kind:     global_buffer
    .group_segment_fixed_size: 0
    .kernarg_segment_align: 8
    .kernarg_segment_size: 16
    .language:       OpenCL C
    .language_version:
      - 2
      - 0
    .max_flat_workgroup_size: 1024
    .name:           _Z12geglu_kernelIffLi160ELi2560ELi8ELi2EEvPT_PKS0_
    .private_segment_fixed_size: 0
    .sgpr_count:     15
    .sgpr_spill_count: 0
    .symbol:         _Z12geglu_kernelIffLi160ELi2560ELi8ELi2EEvPT_PKS0_.kd
    .uniform_work_group_size: 1
    .uses_dynamic_stack: false
    .vgpr_count:     68
    .vgpr_spill_count: 0
    .wavefront_size: 64
  - .agpr_count:     0
    .args:
      - .address_space:  global
        .offset:         0
        .size:           8
        .value_kind:     global_buffer
      - .address_space:  global
        .offset:         8
        .size:           8
        .value_kind:     global_buffer
    .group_segment_fixed_size: 0
    .kernarg_segment_align: 8
    .kernarg_segment_size: 16
    .language:       OpenCL C
    .language_version:
      - 2
      - 0
    .max_flat_workgroup_size: 1024
    .name:           _Z12geglu_kernelIffLi160ELi5120ELi8ELi2EEvPT_PKS0_
    .private_segment_fixed_size: 0
    .sgpr_count:     16
    .sgpr_spill_count: 0
    .symbol:         _Z12geglu_kernelIffLi160ELi5120ELi8ELi2EEvPT_PKS0_.kd
    .uniform_work_group_size: 1
    .uses_dynamic_stack: false
    .vgpr_count:     69
    .vgpr_spill_count: 0
    .wavefront_size: 64
amdhsa.target:   amdgcn-amd-amdhsa--gfx950
amdhsa.version:
  - 1
  - 2
...

	.end_amdgpu_metadata
